;; amdgpu-corpus repo=ROCm/rocFFT kind=compiled arch=gfx1201 opt=O3
	.text
	.amdgcn_target "amdgcn-amd-amdhsa--gfx1201"
	.amdhsa_code_object_version 6
	.protected	bluestein_single_back_len935_dim1_half_op_CI_CI ; -- Begin function bluestein_single_back_len935_dim1_half_op_CI_CI
	.globl	bluestein_single_back_len935_dim1_half_op_CI_CI
	.p2align	8
	.type	bluestein_single_back_len935_dim1_half_op_CI_CI,@function
bluestein_single_back_len935_dim1_half_op_CI_CI: ; @bluestein_single_back_len935_dim1_half_op_CI_CI
; %bb.0:
	s_load_b128 s[8:11], s[0:1], 0x28
	v_mul_u32_u24_e32 v1, 0x304, v0
	s_mov_b32 s2, exec_lo
	s_delay_alu instid0(VALU_DEP_1) | instskip(NEXT) | instid1(VALU_DEP_1)
	v_lshrrev_b32_e32 v1, 16, v1
	v_mad_co_u64_u32 v[20:21], null, ttmp9, 3, v[1:2]
	v_mov_b32_e32 v21, 0
	s_wait_kmcnt 0x0
	s_delay_alu instid0(VALU_DEP_1)
	v_cmpx_gt_u64_e64 s[8:9], v[20:21]
	s_cbranch_execz .LBB0_23
; %bb.1:
	v_mul_hi_u32 v2, 0xaaaaaaab, v20
	s_clause 0x1
	s_load_b64 s[8:9], s[0:1], 0x0
	s_load_b64 s[12:13], s[0:1], 0x38
	v_mul_lo_u16 v1, 0x55, v1
	s_delay_alu instid0(VALU_DEP_1) | instskip(NEXT) | instid1(VALU_DEP_3)
	v_sub_nc_u16 v0, v0, v1
	v_lshrrev_b32_e32 v2, 1, v2
	s_delay_alu instid0(VALU_DEP_2) | instskip(NEXT) | instid1(VALU_DEP_2)
	v_and_b32_e32 v44, 0xffff, v0
	v_lshl_add_u32 v2, v2, 1, v2
	v_cmp_gt_u16_e32 vcc_lo, 55, v0
	s_delay_alu instid0(VALU_DEP_3) | instskip(NEXT) | instid1(VALU_DEP_3)
	v_lshlrev_b32_e32 v43, 2, v44
	v_sub_nc_u32_e32 v1, v20, v2
	s_delay_alu instid0(VALU_DEP_1) | instskip(NEXT) | instid1(VALU_DEP_1)
	v_mul_u32_u24_e32 v45, 0x3a7, v1
	v_lshlrev_b32_e32 v46, 2, v45
	s_and_saveexec_b32 s3, vcc_lo
	s_cbranch_execz .LBB0_3
; %bb.2:
	s_load_b64 s[4:5], s[0:1], 0x18
	s_wait_kmcnt 0x0
	s_load_b128 s[4:7], s[4:5], 0x0
	s_wait_kmcnt 0x0
	v_mad_co_u64_u32 v[0:1], null, s6, v20, 0
	v_mad_co_u64_u32 v[2:3], null, s4, v44, 0
	s_delay_alu instid0(VALU_DEP_1) | instskip(NEXT) | instid1(VALU_DEP_1)
	v_mad_co_u64_u32 v[4:5], null, s7, v20, v[1:2]
	v_mad_co_u64_u32 v[5:6], null, s5, v44, v[3:4]
	v_mov_b32_e32 v1, v4
	s_mul_u64 s[4:5], s[4:5], 0xdc
	s_delay_alu instid0(VALU_DEP_1) | instskip(NEXT) | instid1(VALU_DEP_3)
	v_lshlrev_b64_e32 v[0:1], 2, v[0:1]
	v_mov_b32_e32 v3, v5
	s_clause 0xe
	global_load_b32 v4, v43, s[8:9]
	global_load_b32 v5, v43, s[8:9] offset:220
	global_load_b32 v6, v43, s[8:9] offset:440
	;; [unrolled: 1-line block ×14, first 2 shown]
	v_lshlrev_b64_e32 v[2:3], 2, v[2:3]
	v_add_co_u32 v0, s2, s10, v0
	s_delay_alu instid0(VALU_DEP_1) | instskip(NEXT) | instid1(VALU_DEP_2)
	v_add_co_ci_u32_e64 v1, s2, s11, v1, s2
	v_add_co_u32 v0, s2, v0, v2
	s_wait_alu 0xf1ff
	s_delay_alu instid0(VALU_DEP_2) | instskip(SKIP_1) | instid1(VALU_DEP_2)
	v_add_co_ci_u32_e64 v1, s2, v1, v3, s2
	s_wait_alu 0xfffe
	v_add_co_u32 v2, s2, v0, s4
	s_wait_alu 0xf1ff
	s_delay_alu instid0(VALU_DEP_2)
	v_add_co_ci_u32_e64 v3, s2, s5, v1, s2
	global_load_b32 v19, v[0:1], off
	v_add_co_u32 v0, s2, v2, s4
	s_wait_alu 0xf1ff
	v_add_co_ci_u32_e64 v1, s2, s5, v3, s2
	global_load_b32 v21, v43, s[8:9] offset:3300
	global_load_b32 v22, v[2:3], off
	global_load_b32 v23, v43, s[8:9] offset:3520
	global_load_b32 v24, v[0:1], off
	v_add_co_u32 v0, s2, v0, s4
	s_wait_alu 0xf1ff
	v_add_co_ci_u32_e64 v1, s2, s5, v1, s2
	s_delay_alu instid0(VALU_DEP_2) | instskip(SKIP_1) | instid1(VALU_DEP_2)
	v_add_co_u32 v2, s2, v0, s4
	s_wait_alu 0xf1ff
	v_add_co_ci_u32_e64 v3, s2, s5, v1, s2
	s_clause 0x1
	global_load_b32 v25, v[0:1], off
	global_load_b32 v26, v[2:3], off
	v_add_co_u32 v0, s2, v2, s4
	s_wait_alu 0xf1ff
	v_add_co_ci_u32_e64 v1, s2, s5, v3, s2
	s_delay_alu instid0(VALU_DEP_2) | instskip(SKIP_1) | instid1(VALU_DEP_2)
	v_add_co_u32 v2, s2, v0, s4
	s_wait_alu 0xf1ff
	v_add_co_ci_u32_e64 v3, s2, s5, v1, s2
	global_load_b32 v27, v[0:1], off
	v_add_co_u32 v0, s2, v2, s4
	s_wait_alu 0xf1ff
	v_add_co_ci_u32_e64 v1, s2, s5, v3, s2
	global_load_b32 v28, v[2:3], off
	global_load_b32 v29, v[0:1], off
	v_add_co_u32 v0, s2, v0, s4
	s_wait_alu 0xf1ff
	v_add_co_ci_u32_e64 v1, s2, s5, v1, s2
	s_delay_alu instid0(VALU_DEP_2) | instskip(SKIP_1) | instid1(VALU_DEP_2)
	v_add_co_u32 v2, s2, v0, s4
	s_wait_alu 0xf1ff
	v_add_co_ci_u32_e64 v3, s2, s5, v1, s2
	global_load_b32 v30, v[0:1], off
	v_add_co_u32 v0, s2, v2, s4
	s_wait_alu 0xf1ff
	v_add_co_ci_u32_e64 v1, s2, s5, v3, s2
	;; [unrolled: 13-line block ×3, first 2 shown]
	global_load_b32 v34, v[2:3], off
	v_add_co_u32 v2, s2, v0, s4
	s_wait_alu 0xf1ff
	v_add_co_ci_u32_e64 v3, s2, s5, v1, s2
	global_load_b32 v35, v[0:1], off
	v_add_co_u32 v0, s2, v2, s4
	s_wait_alu 0xf1ff
	v_add_co_ci_u32_e64 v1, s2, s5, v3, s2
	;; [unrolled: 4-line block ×3, first 2 shown]
	global_load_b32 v0, v[0:1], off
	global_load_b32 v1, v[2:3], off
	v_lshl_add_u32 v3, v44, 2, v46
	v_add_nc_u32_e32 v2, v46, v43
	s_delay_alu instid0(VALU_DEP_1)
	v_add_nc_u32_e32 v38, 0x600, v2
	v_add_nc_u32_e32 v37, 0x400, v2
	;; [unrolled: 1-line block ×4, first 2 shown]
	s_wait_loadcnt 0x21
	v_lshrrev_b32_e32 v41, 16, v4
	s_wait_loadcnt 0x20
	v_lshrrev_b32_e32 v42, 16, v5
	;; [unrolled: 2-line block ×16, first 2 shown]
	v_mul_f16_e32 v61, v41, v19
	s_wait_loadcnt 0x11
	v_lshrrev_b32_e32 v62, 16, v21
	s_wait_loadcnt 0x10
	v_lshrrev_b32_e32 v63, 16, v22
	;; [unrolled: 2-line block ×3, first 2 shown]
	v_mul_f16_e32 v41, v41, v58
	v_fma_f16 v58, v4, v58, -v61
	v_mul_f16_e32 v61, v42, v22
	s_delay_alu instid0(VALU_DEP_3)
	v_fmac_f16_e32 v41, v4, v19
	v_mul_f16_e32 v4, v42, v63
	s_wait_loadcnt 0xe
	v_lshrrev_b32_e32 v19, 16, v24
	v_mul_f16_e32 v42, v47, v24
	v_fma_f16 v61, v5, v63, -v61
	v_pack_b32_f16 v41, v41, v58
	v_fmac_f16_e32 v4, v5, v22
	v_mul_f16_e32 v5, v47, v19
	s_wait_loadcnt 0xd
	v_lshrrev_b32_e32 v22, 16, v25
	v_fma_f16 v19, v6, v19, -v42
	v_mul_f16_e32 v42, v48, v25
	ds_store_b32 v3, v41
	v_pack_b32_f16 v3, v4, v61
	v_fmac_f16_e32 v5, v6, v24
	v_mul_f16_e32 v4, v48, v22
	s_wait_loadcnt 0xc
	v_lshrrev_b32_e32 v6, 16, v26
	v_mul_f16_e32 v24, v49, v26
	v_fma_f16 v22, v7, v22, -v42
	v_pack_b32_f16 v5, v5, v19
	v_fmac_f16_e32 v4, v7, v25
	v_mul_f16_e32 v7, v49, v6
	s_wait_loadcnt 0xb
	v_lshrrev_b32_e32 v19, 16, v27
	v_fma_f16 v6, v8, v6, -v24
	v_mul_f16_e32 v24, v50, v27
	ds_store_2addr_b32 v2, v3, v5 offset0:55 offset1:110
	v_pack_b32_f16 v3, v4, v22
	v_fmac_f16_e32 v7, v8, v26
	v_mul_f16_e32 v4, v50, v19
	s_wait_loadcnt 0xa
	v_lshrrev_b32_e32 v5, 16, v28
	v_mul_f16_e32 v8, v51, v28
	v_fma_f16 v19, v9, v19, -v24
	v_pack_b32_f16 v6, v7, v6
	v_fmac_f16_e32 v4, v9, v27
	v_mul_f16_e32 v7, v51, v5
	v_fma_f16 v5, v10, v5, -v8
	s_wait_loadcnt 0x9
	v_lshrrev_b32_e32 v8, 16, v29
	v_mul_f16_e32 v9, v52, v29
	ds_store_2addr_b32 v2, v3, v6 offset0:165 offset1:220
	v_pack_b32_f16 v3, v4, v19
	v_fmac_f16_e32 v7, v10, v28
	v_mul_f16_e32 v4, v52, v8
	s_wait_loadcnt 0x8
	v_lshrrev_b32_e32 v6, 16, v30
	v_mul_f16_e32 v10, v53, v30
	v_fma_f16 v8, v11, v8, -v9
	v_pack_b32_f16 v5, v7, v5
	v_fmac_f16_e32 v4, v11, v29
	v_mul_f16_e32 v7, v53, v6
	s_wait_loadcnt 0x7
	v_lshrrev_b32_e32 v9, 16, v31
	v_fma_f16 v6, v12, v6, -v10
	v_mul_f16_e32 v10, v54, v31
	ds_store_2addr_b32 v37, v3, v5 offset0:19 offset1:74
	v_pack_b32_f16 v3, v4, v8
	v_fmac_f16_e32 v7, v12, v30
	v_mul_f16_e32 v4, v54, v9
	s_wait_loadcnt 0x6
	v_lshrrev_b32_e32 v5, 16, v32
	v_fma_f16 v8, v13, v9, -v10
	v_mul_f16_e32 v9, v55, v32
	v_pack_b32_f16 v6, v7, v6
	v_fmac_f16_e32 v4, v13, v31
	v_mul_f16_e32 v7, v55, v5
	s_wait_loadcnt 0x5
	v_lshrrev_b32_e32 v10, 16, v33
	v_mul_f16_e32 v11, v56, v33
	v_fma_f16 v5, v14, v5, -v9
	v_pack_b32_f16 v4, v4, v8
	v_fmac_f16_e32 v7, v14, v32
	v_mul_f16_e32 v8, v56, v10
	v_fma_f16 v9, v15, v10, -v11
	s_wait_loadcnt 0x4
	v_lshrrev_b32_e32 v10, 16, v34
	v_mul_f16_e32 v11, v57, v34
	v_pack_b32_f16 v5, v7, v5
	v_fmac_f16_e32 v8, v15, v33
	s_wait_loadcnt 0x3
	v_lshrrev_b32_e32 v7, 16, v35
	v_mul_f16_e32 v12, v57, v10
	v_fma_f16 v10, v16, v10, -v11
	v_mul_f16_e32 v11, v59, v35
	s_wait_loadcnt 0x2
	v_lshrrev_b32_e32 v13, 16, v36
	v_pack_b32_f16 v8, v8, v9
	v_mul_f16_e32 v9, v59, v7
	v_fmac_f16_e32 v12, v16, v34
	v_fma_f16 v7, v17, v7, -v11
	v_mul_f16_e32 v11, v60, v36
	s_wait_loadcnt 0x1
	v_lshrrev_b32_e32 v14, 16, v0
	s_wait_loadcnt 0x0
	v_lshrrev_b32_e32 v16, 16, v1
	v_mul_f16_e32 v15, v60, v13
	v_fmac_f16_e32 v9, v17, v35
	v_fma_f16 v11, v18, v13, -v11
	v_mul_f16_e32 v13, v62, v0
	v_mul_f16_e32 v17, v62, v14
	;; [unrolled: 1-line block ×4, first 2 shown]
	v_fmac_f16_e32 v15, v18, v36
	v_fma_f16 v13, v21, v14, -v13
	v_fmac_f16_e32 v17, v21, v0
	v_fma_f16 v0, v23, v16, -v19
	v_fmac_f16_e32 v22, v23, v1
	v_pack_b32_f16 v1, v12, v10
	v_pack_b32_f16 v7, v9, v7
	;; [unrolled: 1-line block ×5, first 2 shown]
	v_add_nc_u32_e32 v2, 0xc00, v2
	ds_store_2addr_b32 v37, v3, v6 offset0:129 offset1:184
	ds_store_2addr_b32 v38, v4, v5 offset0:111 offset1:166
	ds_store_2addr_b32 v39, v8, v1 offset0:93 offset1:148
	ds_store_2addr_b32 v40, v7, v9 offset0:75 offset1:130
	ds_store_2addr_b32 v2, v10, v0 offset0:57 offset1:112
.LBB0_3:
	s_or_b32 exec_lo, exec_lo, s3
	s_clause 0x1
	s_load_b64 s[4:5], s[0:1], 0x20
	s_load_b64 s[2:3], s[0:1], 0x8
	v_mov_b32_e32 v6, 0
	global_wb scope:SCOPE_SE
	s_wait_dscnt 0x0
	s_wait_kmcnt 0x0
	s_barrier_signal -1
	s_barrier_wait -1
	global_inv scope:SCOPE_SE
                                        ; implicit-def: $vgpr16
                                        ; implicit-def: $vgpr1
                                        ; implicit-def: $vgpr3
                                        ; implicit-def: $vgpr5
                                        ; implicit-def: $vgpr9
                                        ; implicit-def: $vgpr11
                                        ; implicit-def: $vgpr15
                                        ; implicit-def: $vgpr13
                                        ; implicit-def: $vgpr65
	s_and_saveexec_b32 s0, vcc_lo
	s_cbranch_execz .LBB0_5
; %bb.4:
	v_lshl_add_u32 v16, v45, 2, v43
	s_delay_alu instid0(VALU_DEP_1)
	v_add_nc_u32_e32 v0, 0x200, v16
	v_add_nc_u32_e32 v1, 0x400, v16
	v_add_nc_u32_e32 v2, 0x800, v16
	ds_load_2addr_b32 v[6:7], v16 offset1:55
	ds_load_2addr_b32 v[12:13], v16 offset0:110 offset1:165
	v_add_nc_u32_e32 v17, 0xc00, v16
	ds_load_2addr_b32 v[14:15], v0 offset0:92 offset1:147
	ds_load_2addr_b32 v[10:11], v1 offset0:74 offset1:129
	;; [unrolled: 1-line block ×6, first 2 shown]
	ds_load_b32 v16, v16 offset:3520
	s_wait_dscnt 0x7
	v_alignbit_b32 v65, v12, v12, 16
.LBB0_5:
	s_wait_alu 0xfffe
	s_or_b32 exec_lo, exec_lo, s0
	s_wait_dscnt 0x0
	v_pk_add_f16 v17, v7, v16 neg_lo:[0,1] neg_hi:[0,1]
	v_pk_add_f16 v12, v16, v7
	v_lshrrev_b32_e32 v36, 16, v6
	global_wb scope:SCOPE_SE
	s_barrier_signal -1
	v_lshrrev_b32_e32 v21, 16, v17
	v_lshrrev_b32_e32 v70, 16, v12
	v_mul_f16_e32 v37, 0xb964, v17
	v_mul_f16_e32 v56, 0xbb29, v17
	;; [unrolled: 1-line block ×5, first 2 shown]
	v_fma_f16 v18, v70, 0x39e9, -v37
	v_fma_f16 v19, v70, 0x3722, -v56
	v_mul_f16_e32 v66, 0xbbb2, v21
	v_mul_f16_e32 v55, 0xbb29, v21
	v_fmamk_f16 v23, v12, 0x3b76, v31
	v_add_f16_e32 v25, v18, v36
	v_fmamk_f16 v18, v12, 0x2de8, v59
	v_add_f16_e32 v26, v19, v36
	v_pk_add_f16 v19, v65, v1 op_sel:[1,0] op_sel_hi:[0,1] neg_lo:[0,1] neg_hi:[0,1]
	v_mul_f16_e32 v73, 0xba62, v21
	v_fmamk_f16 v21, v12, 0xb461, v66
	v_add_f16_e32 v27, v18, v6
	v_pk_add_f16 v18, v1, v65 op_sel:[1,0] op_sel_hi:[0,1]
	v_lshrrev_b32_e32 v28, 16, v19
	v_mul_f16_e32 v57, 0xbbf7, v19
	v_fma_f16 v22, v70, 0x2de8, -v62
	v_fmamk_f16 v24, v12, 0x3722, v55
	v_lshrrev_b32_e32 v72, 16, v18
	v_mul_f16_e32 v34, 0xb964, v28
	v_add_f16_e32 v23, v23, v6
	v_add_f16_e32 v35, v21, v6
	v_mul_f16_e32 v58, 0xba62, v28
	v_mul_f16_e32 v63, 0xb1e1, v28
	v_fmamk_f16 v33, v72, 0x39e9, v34
	v_mul_f16_e32 v64, 0xb1e1, v19
	v_fma_f16 v21, v18, 0x2de8, -v57
	v_add_f16_e32 v24, v24, v6
	v_add_f16_e32 v22, v22, v36
	v_fmamk_f16 v30, v12, 0xb8d2, v73
	v_add_f16_e32 v23, v33, v23
	v_fmamk_f16 v33, v72, 0xb8d2, v58
	v_fmamk_f16 v39, v72, 0xbbdd, v63
	v_fma_f16 v40, v18, 0xbbdd, -v64
	v_add_f16_e32 v41, v21, v25
	v_pk_add_f16 v25, v13, v0 neg_lo:[0,1] neg_hi:[0,1]
	v_mul_f16_e32 v82, 0x3bb2, v28
	v_mul_f16_e32 v69, 0xbbb2, v17
	;; [unrolled: 1-line block ×3, first 2 shown]
	v_add_f16_e32 v30, v30, v6
	v_mul_f16_e32 v61, 0xba62, v19
	v_add_f16_e32 v24, v33, v24
	v_add_f16_e32 v27, v39, v27
	;; [unrolled: 1-line block ×3, first 2 shown]
	v_mul_f16_e32 v68, 0x3836, v28
	v_lshrrev_b32_e32 v40, 16, v25
	v_fmamk_f16 v33, v72, 0xb461, v82
	v_fma_f16 v29, v70, 0xb461, -v69
	v_fma_f16 v32, v70, 0xb8d2, -v78
	;; [unrolled: 1-line block ×3, first 2 shown]
	v_mul_f16_e32 v74, 0x3836, v19
	v_mul_f16_e32 v85, 0x3bb2, v19
	v_fmamk_f16 v22, v72, 0xbacd, v68
	v_pk_add_f16 v21, v0, v13
	v_mul_f16_e32 v53, 0xbb29, v40
	v_add_f16_e32 v48, v33, v30
	v_pk_add_f16 v30, v14, v3 neg_lo:[0,1] neg_hi:[0,1]
	v_add_f16_e32 v29, v29, v36
	v_add_f16_e32 v32, v32, v36
	;; [unrolled: 1-line block ×3, first 2 shown]
	v_fma_f16 v28, v18, 0xbacd, -v74
	v_fma_f16 v38, v18, 0xb461, -v85
	v_add_f16_e32 v35, v22, v35
	v_fmamk_f16 v22, v21, 0x3722, v53
	v_mul_f16_e32 v67, 0x3bb2, v40
	v_mul_f16_e32 v75, 0x3964, v40
	v_lshrrev_b32_e32 v51, 16, v30
	v_pk_add_f16 v33, v15, v2 neg_lo:[0,1] neg_hi:[0,1]
	v_add_f16_e32 v42, v28, v29
	v_add_f16_e32 v49, v38, v32
	;; [unrolled: 1-line block ×3, first 2 shown]
	v_fmamk_f16 v29, v21, 0xb461, v67
	v_fmamk_f16 v32, v21, 0x39e9, v75
	v_pk_add_f16 v22, v3, v14
	v_mul_f16_e32 v71, 0x35c8, v51
	v_mul_f16_e32 v79, 0xbb29, v51
	v_lshrrev_b32_e32 v52, 16, v33
	v_add_f16_e32 v27, v29, v27
	v_add_f16_e32 v32, v32, v35
	v_fmamk_f16 v38, v22, 0x3b76, v71
	v_fmamk_f16 v47, v22, 0x3722, v79
	v_pk_add_f16 v29, v2, v15
	v_pk_add_f16 v35, v10, v5 neg_lo:[0,1] neg_hi:[0,1]
	v_mul_f16_e32 v83, 0xb1e1, v52
	v_mul_f16_e32 v76, 0xbb29, v52
	v_add_f16_e32 v27, v38, v27
	v_add_f16_e32 v47, v47, v32
	v_lshrrev_b32_e32 v95, 16, v35
	v_fmamk_f16 v54, v29, 0xbbdd, v83
	v_pk_add_f16 v38, v11, v4 neg_lo:[0,1] neg_hi:[0,1]
	v_fmamk_f16 v50, v29, 0x3722, v76
	v_pk_add_f16 v32, v5, v10
	v_mul_f16_e32 v80, 0xb836, v95
	v_mul_f16_e32 v89, 0x3bf7, v95
	v_add_f16_e32 v54, v54, v47
	v_lshrrev_b32_e32 v99, 16, v38
	v_pk_add_f16 v47, v8, v9 neg_lo:[0,1] neg_hi:[0,1]
	v_lshrrev_b32_e32 v77, 16, v21
	v_mul_f16_e32 v60, 0xba62, v25
	v_add_f16_e32 v27, v50, v27
	v_fmamk_f16 v81, v32, 0xbacd, v80
	v_fmamk_f16 v84, v32, 0x2de8, v89
	v_pk_add_f16 v50, v4, v11
	v_mul_f16_e32 v86, 0x3a62, v99
	v_mul_f16_e32 v91, 0xb5c8, v99
	v_lshrrev_b32_e32 v129, 16, v47
	v_fma_f16 v28, v77, 0xb8d2, -v60
	v_add_f16_e32 v27, v81, v27
	v_add_f16_e32 v81, v84, v54
	v_fmamk_f16 v84, v50, 0xb8d2, v86
	v_fmamk_f16 v87, v50, 0x3b76, v91
	v_pk_add_f16 v54, v9, v8
	v_mul_f16_e64 v90, 0x3964, v129
	v_mul_f16_e64 v98, 0xba62, v129
	v_add_f16_e32 v41, v28, v41
	v_add_f16_e32 v27, v84, v27
	;; [unrolled: 1-line block ×3, first 2 shown]
	v_fmamk_f16 v28, v54, 0x39e9, v90
	v_fmamk_f16 v84, v54, 0xb8d2, v98
	v_mul_f16_e32 v96, 0x31e1, v25
	v_mul_f16_e32 v88, 0x31e1, v40
	v_mul_f16_e64 v130, 0x3964, v25
	v_add_f16_e32 v28, v28, v27
	v_add_f16_e32 v27, v84, v81
	v_fma_f16 v84, v77, 0xbbdd, -v96
	v_mul_f16_e64 v138, 0xb5c8, v40
	v_fmamk_f16 v81, v21, 0xbbdd, v88
	v_fma_f16 v40, v77, 0x39e9, -v130
	v_mul_f16_e64 v143, 0xb5c8, v25
	v_add_f16_e32 v26, v84, v26
	v_fma_f16 v84, 0x3b76, v21, v138
	v_mul_f16_e32 v105, 0x3bb2, v25
	v_add_f16_e32 v24, v81, v24
	v_mul_f16_e32 v81, 0xbbf7, v51
	v_add_f16_e32 v40, v40, v42
	v_add_f16_e32 v42, v84, v48
	v_fma_f16 v48, v77, 0x3b76, -v143
	v_mul_f16_e32 v94, 0x3bb2, v51
	v_fma_f16 v87, v77, 0xb461, -v105
	v_lshrrev_b32_e32 v131, 16, v22
	v_fmamk_f16 v84, v22, 0x2de8, v81
	v_mul_f16_e32 v100, 0x3bb2, v30
	v_add_f16_e32 v48, v48, v49
	v_fmamk_f16 v49, v22, 0xb461, v94
	v_mul_f16_e32 v116, 0x35c8, v30
	v_add_f16_e32 v39, v87, v39
	v_mul_f16_e32 v92, 0xb1e1, v30
	v_add_f16_e32 v23, v84, v23
	v_fma_f16 v84, v131, 0xb461, -v100
	v_mul_f16_e64 v135, 0xbb29, v30
	v_add_f16_e32 v24, v49, v24
	v_fma_f16 v49, v131, 0x3b76, -v116
	v_mul_f16_e64 v144, 0xb836, v30
	v_fma_f16 v87, v131, 0xbbdd, -v92
	v_mul_f16_e64 v141, 0xb836, v51
	v_add_f16_e32 v26, v84, v26
	v_fma_f16 v51, v131, 0x3722, -v135
	v_mul_f16_e32 v84, 0xbbb2, v52
	v_add_f16_e32 v39, v49, v39
	v_fma_f16 v49, v131, 0xbacd, -v144
	v_lshrrev_b32_e32 v134, 16, v29
	v_mul_f16_e32 v93, 0x3836, v33
	v_add_f16_e32 v41, v87, v41
	v_add_f16_e32 v40, v51, v40
	v_fmamk_f16 v51, v29, 0xb461, v84
	v_mul_f16_e32 v102, 0x3964, v52
	v_add_f16_e32 v48, v49, v48
	v_fma_f16 v49, v134, 0xbacd, -v93
	v_mul_f16_e32 v118, 0xbb29, v33
	v_fma_f16 v87, 0xbacd, v22, v141
	v_add_f16_e32 v23, v51, v23
	v_fmamk_f16 v51, v29, 0x39e9, v102
	v_mul_f16_e64 v139, 0xb1e1, v33
	v_add_f16_e32 v41, v49, v41
	v_fma_f16 v49, v134, 0x3722, -v118
	v_mul_f16_e64 v145, 0x3bf7, v52
	v_add_f16_e32 v42, v87, v42
	v_mul_f16_e32 v103, 0x3964, v33
	v_add_f16_e32 v24, v51, v24
	v_fma_f16 v51, v134, 0xbbdd, -v139
	v_mul_f16_e64 v149, 0x3bf7, v33
	v_add_f16_e32 v39, v49, v39
	v_fma_f16 v49, 0x2de8, v29, v145
	v_lshrrev_b32_e32 v137, 16, v32
	v_mul_f16_e32 v97, 0x3bb2, v35
	v_fma_f16 v87, v134, 0x39e9, -v103
	v_add_f16_e32 v40, v51, v40
	v_fma_f16 v51, v134, 0x2de8, -v149
	v_add_f16_e32 v42, v49, v42
	v_mul_f16_e32 v101, 0xb5c8, v95
	v_fma_f16 v49, v137, 0xb461, -v97
	v_mul_f16_e32 v114, 0xb5c8, v35
	v_add_f16_e32 v26, v87, v26
	v_mul_f16_e32 v87, 0xba62, v95
	v_add_f16_e32 v48, v51, v48
	v_fmamk_f16 v51, v32, 0x3b76, v101
	v_mul_f16_e32 v127, 0xb836, v35
	v_add_f16_e32 v41, v49, v41
	v_fma_f16 v49, v137, 0x3b76, -v114
	v_mul_f16_e64 v150, 0xb964, v95
	v_fmamk_f16 v52, v32, 0xb8d2, v87
	v_mul_f16_e64 v142, 0x3bf7, v35
	v_add_f16_e32 v24, v51, v24
	v_fma_f16 v51, v137, 0xbacd, -v127
	v_add_f16_e32 v26, v49, v26
	v_mul_f16_e64 v151, 0xb964, v35
	v_fma_f16 v49, 0x39e9, v32, v150
	v_mul_f16_e32 v95, 0xb836, v99
	v_add_f16_e32 v23, v52, v23
	v_fma_f16 v52, v137, 0x2de8, -v142
	v_add_f16_e32 v39, v51, v39
	v_fma_f16 v51, v137, 0x39e9, -v151
	v_lshrrev_b32_e32 v140, 16, v50
	v_mul_f16_e32 v104, 0x3b29, v38
	v_add_f16_e32 v42, v49, v42
	v_fmamk_f16 v49, v50, 0xbacd, v95
	v_mul_f16_e32 v106, 0xbbf7, v99
	v_add_f16_e32 v40, v52, v40
	v_add_f16_e32 v48, v51, v48
	v_fma_f16 v51, v140, 0x3722, -v104
	v_mul_f16_e32 v111, 0xbbf7, v38
	v_add_f16_e32 v23, v49, v23
	v_fmamk_f16 v49, v50, 0x2de8, v106
	v_pk_mul_f16 v52, 0x3b7639e9, v12
	v_add_f16_e32 v41, v51, v41
	v_fma_f16 v51, v140, 0x2de8, -v111
	v_mul_f16_e64 v136, 0x3a62, v38
	v_add_f16_e32 v24, v49, v24
	v_pk_fma_f16 v107, 0xb964b5c8, v17, v52 op_sel:[0,0,1] op_sel_hi:[1,1,0]
	v_pk_mul_f16 v49, 0xbbf7b964, v19
	v_add_f16_e32 v26, v51, v26
	v_fma_f16 v51, v140, 0xb8d2, -v136
	v_mul_f16_e64 v148, 0xb5c8, v38
	v_lshrrev_b32_e32 v108, 16, v107
	v_pk_fma_f16 v109, 0x2de839e9, v18, v49
	v_pk_mul_f16 v121, 0x3722b8d2, v21
	v_add_f16_e32 v51, v51, v39
	v_fma_f16 v39, v140, 0x3b76, -v148
	v_add_f16_e32 v108, v108, v6
	v_lshrrev_b32_e32 v110, 16, v109
	v_pk_fma_f16 v112, 0xba62bb29, v25, v121 op_sel:[0,0,1] op_sel_hi:[1,1,0]
	v_pk_mul_f16 v123, 0x2de8bbdd, v22
	v_mul_f16_e64 v152, 0xb1e1, v99
	v_add_f16_e64 v157, v39, v40
	v_add_f16_e32 v39, v110, v108
	v_lshrrev_b32_e32 v40, 16, v112
	v_pk_fma_f16 v110, 0xb1e1bbf7, v30, v123 op_sel:[0,0,1] op_sel_hi:[1,1,0]
	v_pk_mul_f16 v99, 0xb461bacd, v29
	v_fma_f16 v108, 0xbbdd, v50, v152
	v_mul_f16_e64 v154, 0xb1e1, v38
	v_add_f16_e32 v39, v40, v39
	v_lshrrev_b32_e32 v40, 16, v110
	v_pk_fma_f16 v113, 0x3836bbb2, v33, v99 op_sel:[0,0,1] op_sel_hi:[1,1,0]
	v_pk_mul_f16 v124, 0xb8d2b461, v32
	v_add_f16_e64 v158, v108, v42
	v_fma_f16 v42, v140, 0xbbdd, -v154
	v_mul_f16_e64 v108, 0xb1e1, v129
	v_pk_fma_f16 v120, 0xb964b5c8, v17, v52 op_sel:[0,0,1] op_sel_hi:[1,1,0] neg_lo:[0,1,0] neg_hi:[0,1,0]
	v_add_f16_e32 v39, v40, v39
	v_lshrrev_b32_e32 v40, 16, v113
	v_pk_fma_f16 v115, 0x3bb2ba62, v35, v124 op_sel:[0,0,1] op_sel_hi:[1,1,0]
	v_pk_mul_f16 v126, 0xbacd3722, v50
	v_add_f16_e32 v42, v42, v48
	v_fmamk_f16 v48, v54, 0xbbdd, v108
	v_pk_fma_f16 v122, 0x2de839e9, v18, v49 neg_lo:[0,0,1] neg_hi:[0,0,1]
	v_add_f16_e64 v128, v120, v36
	v_add_f16_e32 v39, v40, v39
	v_lshrrev_b32_e32 v40, 16, v115
	v_pk_fma_f16 v117, 0x3b29b836, v38, v126 op_sel:[0,0,1] op_sel_hi:[1,1,0]
	v_add_f16_e32 v49, v48, v23
	v_pk_fma_f16 v125, 0xba62bb29, v25, v121 op_sel:[0,0,1] op_sel_hi:[1,1,0] neg_lo:[0,1,0] neg_hi:[0,1,0]
	v_add_f16_e64 v23, v122, v128
	v_lshrrev_b32_e32 v146, 16, v54
	v_add_f16_e32 v39, v40, v39
	v_lshrrev_b32_e32 v40, 16, v117
	v_mul_f16_e64 v132, 0xb836, v129
	v_mul_f16_e64 v133, 0xb836, v47
	v_pk_fma_f16 v121, 0xb1e1bbf7, v30, v123 op_sel:[0,0,1] op_sel_hi:[1,1,0] neg_lo:[0,1,0] neg_hi:[0,1,0]
	v_add_f16_e32 v23, v125, v23
	v_mul_f16_e32 v119, 0x35c8, v47
	v_add_f16_e32 v48, v40, v39
	v_fma_f16 v39, 0xbacd, v54, v132
	v_fma_f16 v40, v146, 0xbacd, -v133
	v_pk_fma_f16 v123, 0x3836bbb2, v33, v99 op_sel:[0,0,1] op_sel_hi:[1,1,0] neg_lo:[0,1,0] neg_hi:[0,1,0]
	v_add_f16_e32 v99, v121, v23
	v_fma_f16 v52, v146, 0x3b76, -v119
	v_mul_f16_e64 v147, 0x3964, v47
	v_add_f16_e32 v23, v39, v24
	v_add_f16_e32 v39, v40, v26
	v_pk_fma_f16 v124, 0x3bb2ba62, v35, v124 op_sel:[0,0,1] op_sel_hi:[1,1,0] neg_lo:[0,1,0] neg_hi:[0,1,0]
	v_add_f16_e32 v24, v123, v99
	v_pk_mul_f16 v26, 0xbbdd3b76, v54
	v_add_f16_e32 v52, v52, v41
	v_fma_f16 v41, v146, 0x39e9, -v147
	v_mul_f16_e64 v153, 0xba62, v47
	v_mul_f16_e64 v156, 0x3b29, v47
	v_pk_fma_f16 v128, 0x3b29b836, v38, v126 op_sel:[0,0,1] op_sel_hi:[1,1,0] neg_lo:[0,1,0] neg_hi:[0,1,0]
	v_add_f16_e32 v24, v124, v24
	v_pk_fma_f16 v126, 0x35c8b1e1, v47, v26 op_sel:[0,0,1] op_sel_hi:[1,1,0]
	v_mul_f16_e64 v155, 0x3b29, v129
	v_add_f16_e32 v40, v41, v51
	v_fma_f16 v41, v146, 0xb8d2, -v153
	v_fma_f16 v51, v146, 0x3722, -v156
	v_add_f16_e64 v24, v128, v24
	v_pk_fma_f16 v129, 0x35c8b1e1, v47, v26 op_sel:[0,0,1] op_sel_hi:[1,1,0] neg_lo:[0,1,0] neg_hi:[0,1,0]
	v_lshrrev_b32_e32 v26, 16, v126
	v_fma_f16 v99, 0x3722, v54, v155
	v_add_f16_e64 v41, v41, v157
	v_add_f16_e32 v42, v51, v42
	v_add_f16_e64 v51, v129, v24
	v_add_f16_e32 v24, v26, v48
	v_add_f16_e64 v26, v99, v158
	v_mul_lo_u16 v48, v44, 17
	s_barrier_wait -1
	global_inv scope:SCOPE_SE
	s_and_saveexec_b32 s0, vcc_lo
	s_cbranch_execz .LBB0_7
; %bb.6:
	v_mul_f16_e64 v157, 0xb8d2, v70
	v_mul_f16_e64 v160, 0xb461, v18
	;; [unrolled: 1-line block ×5, first 2 shown]
	v_add_f16_e64 v78, v78, v157
	v_add_f16_e64 v85, v85, v160
	;; [unrolled: 1-line block ×3, first 2 shown]
	v_mul_f16_e64 v162, 0xbacd, v131
	v_mul_f16_e64 v163, 0x2de8, v70
	v_add_f16_e32 v78, v78, v36
	v_mul_f16_e32 v70, 0xb461, v70
	v_mul_f16_e64 v164, 0xb461, v12
	v_add_f16_e64 v144, v144, v162
	v_mul_f16_e64 v162, 0x2de8, v134
	v_add_f16_e32 v78, v85, v78
	v_mul_f16_e32 v85, 0xb8d2, v12
	v_add_f16_e32 v69, v69, v70
	v_alignbit_b32 v99, v6, v6, 16
	v_add_f16_e64 v149, v149, v162
	v_add_f16_e64 v78, v143, v78
	v_mul_f16_e64 v143, 0xb461, v72
	v_sub_f16_e32 v73, v85, v73
	v_add_f16_e32 v69, v69, v36
	v_mul_f16_e32 v85, 0x39e9, v72
	v_add_f16_e64 v78, v144, v78
	v_sub_f16_e64 v82, v143, v82
	v_add_f16_e32 v73, v73, v6
	v_mul_f16_e64 v144, 0x3b76, v21
	v_mul_f16_e64 v143, 0x2de8, v18
	v_add_f16_e64 v78, v149, v78
	v_mul_f16_e64 v149, 0xbacd, v22
	v_add_f16_e32 v73, v82, v73
	v_mul_f16_e64 v82, 0x39e9, v137
	v_sub_f16_e64 v138, v144, v138
	v_mul_f16_e64 v162, 0xb8d2, v72
	v_sub_f16_e64 v141, v149, v141
	v_mul_f16_e64 v144, 0xb8d2, v18
	v_add_f16_e64 v82, v151, v82
	v_add_f16_e64 v73, v138, v73
	v_mul_f16_e64 v138, 0xbbdd, v140
	v_mul_f16_e64 v151, 0xbbdd, v72
	v_mul_f16_e32 v72, 0xbacd, v72
	v_add_f16_e32 v78, v82, v78
	v_mul_f16_e32 v82, 0x2de8, v29
	v_add_f16_e64 v138, v154, v138
	v_add_f16_e64 v73, v141, v73
	v_mul_f16_e64 v154, 0xbacd, v18
	v_mul_f16_e64 v141, 0x3722, v146
	v_sub_f16_e64 v82, v82, v145
	v_add_f16_e64 v78, v138, v78
	v_mul_f16_e64 v138, 0x39e9, v32
	v_add_f16_e64 v74, v74, v154
	v_add_f16_e64 v141, v156, v141
	v_add_f16_e32 v73, v82, v73
	v_mul_f16_e64 v156, 0xb8d2, v77
	v_sub_f16_e64 v138, v138, v150
	v_add_f16_e32 v69, v74, v69
	v_mul_f16_e32 v74, 0x3722, v54
	v_mul_f16_e64 v150, 0xbbdd, v77
	v_add_f16_e64 v78, v141, v78
	v_add_f16_e64 v73, v138, v73
	v_mul_f16_e64 v138, 0xbbdd, v50
	v_mul_f16_e64 v141, 0xb461, v77
	v_mul_f16_e32 v77, 0x39e9, v77
	v_sub_f16_e64 v74, v74, v155
	v_sub_f16_e64 v66, v164, v66
	;; [unrolled: 1-line block ×3, first 2 shown]
	v_add_f16_e64 v62, v62, v163
	v_add_f16_e64 v56, v56, v161
	;; [unrolled: 1-line block ×3, first 2 shown]
	v_mul_f16_e64 v157, 0x3722, v12
	v_add_f16_e64 v73, v138, v73
	v_alignbit_b32 v65, v65, v65, 16
	v_mul_f16_e64 v154, 0x39e9, v21
	v_add_f16_e64 v77, v130, v77
	v_mul_f16_e64 v138, 0x3722, v131
	v_add_f16_e32 v73, v74, v73
	v_mul_f16_e64 v74, 0xbbdd, v134
	v_sub_f16_e32 v68, v72, v68
	v_add_f16_e32 v66, v66, v6
	v_add_f16_e32 v62, v62, v36
	;; [unrolled: 1-line block ×3, first 2 shown]
	v_add_f16_e64 v61, v61, v144
	v_add_f16_e32 v36, v37, v36
	v_add_f16_e64 v37, v57, v143
	v_pk_add_f16 v7, v7, v99 op_sel:[0,1] op_sel_hi:[1,0]
	v_mul_f16_e64 v130, 0xbbdd, v131
	v_add_f16_e32 v69, v77, v69
	v_mul_f16_e64 v77, 0xb461, v131
	v_add_f16_e64 v135, v135, v138
	v_add_f16_e64 v74, v139, v74
	v_mul_f16_e64 v139, 0x2de8, v137
	v_add_f16_e32 v66, v68, v66
	v_sub_f16_e64 v75, v154, v75
	v_add_f16_e32 v56, v61, v56
	v_add_f16_e64 v61, v96, v150
	v_sub_f16_e64 v55, v157, v55
	v_add_f16_e32 v36, v37, v36
	v_add_f16_e64 v37, v60, v156
	v_pk_add_f16 v7, v65, v7
	v_mul_f16_e32 v82, 0xbbdd, v21
	v_add_f16_e64 v69, v135, v69
	v_mul_f16_e64 v135, 0x3722, v22
	v_mul_f16_e64 v72, 0xbacd, v134
	v_add_f16_e64 v139, v142, v139
	v_mul_f16_e64 v142, 0x39e9, v134
	v_add_f16_e32 v66, v75, v66
	v_mul_f16_e64 v75, 0xb8d2, v146
	v_add_f16_e32 v56, v61, v56
	v_add_f16_e32 v61, v100, v77
	;; [unrolled: 1-line block ×3, first 2 shown]
	v_sub_f16_e64 v58, v162, v58
	v_add_f16_e32 v36, v37, v36
	v_add_f16_e64 v37, v92, v130
	v_pk_add_f16 v7, v13, v7
	v_mul_f16_e64 v149, 0xbbdd, v18
	v_mul_f16_e64 v155, 0xb461, v22
	v_add_f16_e32 v69, v74, v69
	v_mul_f16_e64 v68, 0x3b76, v140
	v_sub_f16_e64 v79, v135, v79
	v_mul_f16_e64 v135, 0xb461, v137
	v_add_f16_e64 v75, v153, v75
	v_mul_f16_e64 v153, 0x3b76, v137
	v_add_f16_e32 v56, v61, v56
	v_add_f16_e64 v61, v103, v142
	v_add_f16_e32 v55, v58, v55
	v_sub_f16_e32 v58, v82, v88
	v_add_f16_e32 v36, v37, v36
	v_add_f16_e32 v37, v93, v72
	v_pk_add_f16 v7, v14, v7
	v_mul_f16_e64 v158, 0x3b76, v12
	v_mul_f16_e64 v160, 0x2de8, v12
	v_mul_f16_e32 v74, 0x39e9, v29
	v_add_f16_e64 v69, v139, v69
	v_mul_f16_e64 v139, 0xbbdd, v29
	v_add_f16_e64 v68, v148, v68
	v_add_f16_e64 v64, v64, v149
	v_mul_f16_e64 v149, 0x3722, v140
	v_add_f16_e32 v56, v61, v56
	v_add_f16_e64 v57, v114, v153
	v_add_f16_e32 v55, v58, v55
	v_sub_f16_e64 v58, v155, v94
	v_add_f16_e32 v13, v37, v36
	v_add_f16_e64 v36, v97, v135
	v_pk_add_f16 v7, v15, v7
	v_add_f16_e32 v68, v68, v69
	v_mul_f16_e32 v69, 0x3b76, v32
	v_add_f16_e32 v66, v79, v66
	v_sub_f16_e64 v83, v139, v83
	v_sub_f16_e64 v59, v160, v59
	;; [unrolled: 1-line block ×3, first 2 shown]
	v_mul_f16_e64 v151, 0x3b76, v146
	v_add_f16_e32 v56, v57, v56
	v_add_f16_e32 v55, v58, v55
	v_sub_f16_e32 v57, v74, v102
	v_sub_f16_e64 v31, v158, v31
	v_add_f16_e32 v13, v36, v13
	v_add_f16_e64 v36, v104, v149
	v_pk_add_f16 v7, v10, v7
	v_mul_f16_e64 v145, 0x3722, v21
	v_add_f16_e32 v66, v83, v66
	v_mul_f16_e32 v83, 0x2de8, v50
	v_add_f16_e32 v62, v64, v62
	v_add_f16_e64 v105, v105, v141
	v_add_f16_e32 v59, v59, v6
	v_add_f16_e32 v55, v57, v55
	v_sub_f16_e32 v57, v69, v101
	v_add_f16_e32 v6, v31, v6
	v_sub_f16_e32 v15, v85, v34
	v_add_f16_e32 v13, v36, v13
	v_add_f16_e64 v34, v119, v151
	v_pk_add_f16 v7, v11, v7
	v_mul_f16_e64 v152, 0x2de8, v22
	v_add_f16_e32 v62, v105, v62
	v_mul_f16_e32 v105, 0xbacd, v54
	v_add_f16_e32 v55, v57, v55
	v_sub_f16_e32 v57, v83, v106
	v_add_f16_e32 v6, v15, v6
	v_sub_f16_e64 v10, v145, v53
	v_add_f16_e32 v11, v34, v13
	v_bfi_b32 v13, 0xffff, v107, v120
	v_pk_add_f16 v7, v8, v7
	v_mul_f16_e64 v164, 0xb461, v29
	v_add_f16_e32 v14, v57, v55
	v_sub_f16_e64 v31, v105, v132
	v_add_f16_e32 v6, v10, v6
	v_sub_f16_e64 v10, v152, v81
	v_bfi_b32 v8, 0xffff, v109, v122
	v_pk_add_f16 v7, v9, v7
	v_pk_add_f16 v9, v13, v99
	v_mul_f16_e64 v148, 0xb8d2, v32
	v_add_f16_e32 v14, v31, v14
	v_bfi_b32 v31, 0xffff, v112, v125
	v_add_f16_e32 v6, v10, v6
	v_sub_f16_e64 v10, v164, v84
	v_pk_add_f16 v4, v4, v7
	v_pk_add_f16 v7, v8, v9
	v_mul_f16_e64 v139, 0xbacd, v50
	v_bfi_b32 v13, 0xffff, v110, v121
	v_add_f16_e32 v6, v10, v6
	v_sub_f16_e64 v8, v148, v87
	v_pk_add_f16 v4, v5, v4
	v_pk_add_f16 v5, v31, v7
	v_mul_f16_e64 v141, 0xbbdd, v54
	v_bfi_b32 v34, 0xffff, v113, v123
	v_add_f16_e32 v6, v8, v6
	v_sub_f16_e64 v7, v139, v95
	v_pk_add_f16 v2, v2, v4
	v_pk_add_f16 v4, v13, v5
	v_pk_mul_f16 v5, 0xbbdd, v12 op_sel_hi:[0,1]
	v_bfi_b32 v9, 0xffff, v115, v124
	v_add_f16_e32 v6, v7, v6
	v_sub_f16_e64 v7, v141, v108
	v_pk_add_f16 v2, v3, v2
	v_pk_add_f16 v3, v34, v4
	v_pk_fma_f16 v4, 0xb1e1, v17, v5 op_sel:[0,0,1] op_sel_hi:[0,1,0] neg_lo:[0,1,0] neg_hi:[0,1,0]
	v_pk_mul_f16 v13, 0x35c8, v19 op_sel_hi:[0,1]
	v_bfi_b32 v10, 0xffff, v117, v128
	v_add_f16_e32 v6, v7, v6
	v_pk_add_f16 v0, v0, v2
	v_pk_add_f16 v2, v9, v3
	;; [unrolled: 1-line block ×3, first 2 shown]
	v_pk_fma_f16 v4, 0x3b76, v18, v13 op_sel_hi:[0,1,1] neg_lo:[0,0,1] neg_hi:[0,0,1]
	v_pk_mul_f16 v7, 0xbacd, v21 op_sel_hi:[0,1]
	v_mul_f16_e64 v163, 0x2de8, v32
	v_bfi_b32 v8, 0xffff, v126, v129
	v_pk_add_f16 v0, v1, v0
	v_pk_add_f16 v1, v10, v2
	;; [unrolled: 1-line block ×3, first 2 shown]
	v_pk_fma_f16 v3, 0xb836, v25, v7 op_sel:[0,0,1] op_sel_hi:[0,1,0] neg_lo:[0,1,0] neg_hi:[0,1,0]
	v_pk_mul_f16 v4, 0x39e9, v22 op_sel_hi:[0,1]
	v_mul_f16_e64 v131, 0x3b76, v131
	v_sub_f16_e64 v89, v163, v89
	v_mul_f16_e64 v163, 0x2de8, v140
	v_pk_add_f16 v1, v8, v1
	v_pk_add_f16 v2, v3, v2
	v_pk_fma_f16 v3, 0x3964, v30, v4 op_sel:[0,0,1] op_sel_hi:[0,1,0] neg_lo:[0,1,0] neg_hi:[0,1,0]
	v_pk_mul_f16 v8, 0xb8d2, v29 op_sel_hi:[0,1]
	v_add_f16_e64 v116, v116, v131
	v_mul_f16_e64 v131, 0xbacd, v146
	v_add_f16_e64 v58, v111, v163
	v_alignbit_b32 v10, v11, v1, 16
	v_pack_b32_f16 v1, v6, v1
	v_pk_fma_f16 v5, 0xb1e1, v17, v5 op_sel:[0,0,1] op_sel_hi:[0,1,0]
	v_pk_add_f16 v2, v3, v2
	v_pk_fma_f16 v3, 0xba62, v33, v8 op_sel:[0,0,1] op_sel_hi:[0,1,0] neg_lo:[0,1,0] neg_hi:[0,1,0]
	v_pk_mul_f16 v6, 0x3722, v32 op_sel_hi:[0,1]
	v_add_f16_e32 v56, v58, v56
	v_add_f16_e64 v37, v133, v131
	v_pk_add_f16 v0, v16, v0
	v_pk_add_f16 v5, v5, v99
	v_pk_fma_f16 v13, 0x3b76, v18, v13 op_sel_hi:[0,1,1]
	v_pk_add_f16 v2, v3, v2
	v_pk_fma_f16 v3, 0x3b29, v35, v6 op_sel:[0,0,1] op_sel_hi:[0,1,0] neg_lo:[0,1,0] neg_hi:[0,1,0]
	v_pk_mul_f16 v16, 0xb461, v50 op_sel_hi:[0,1]
	v_pk_mul_f16 v17, 0xb836, v17 op_sel_hi:[0,1]
	v_add_f16_e32 v15, v37, v56
	v_pk_add_f16 v5, v13, v5
	v_pk_fma_f16 v7, 0xb836, v25, v7 op_sel:[0,0,1] op_sel_hi:[0,1,0]
	v_pk_add_f16 v2, v3, v2
	v_pk_fma_f16 v3, 0xbbb2, v38, v16 op_sel:[0,0,1] op_sel_hi:[0,1,0] neg_lo:[0,1,0] neg_hi:[0,1,0]
	v_pk_fma_f16 v13, 0xbacd, v12, v17 op_sel:[0,0,1] op_sel_hi:[0,1,0]
	v_pack_b32_f16 v14, v14, v15
	v_pk_add_f16 v5, v7, v5
	v_pk_fma_f16 v4, 0x3964, v30, v4 op_sel:[0,0,1] op_sel_hi:[0,1,0]
	v_pk_add_f16 v2, v3, v2
	s_wait_alu 0xfffe
	v_alignbit_b32 v3, s0, v13, 16
	v_pk_mul_f16 v7, 0x3b29, v19 op_sel_hi:[0,1]
	v_pk_mul_f16 v15, 0xbbf7, v25 op_sel_hi:[0,1]
	v_pk_add_f16 v4, v4, v5
	v_pk_fma_f16 v5, 0xba62, v33, v8 op_sel:[0,0,1] op_sel_hi:[0,1,0]
	v_pk_add_f16 v3, v3, v99
	v_pk_fma_f16 v8, 0x3722, v18, v7 op_sel_hi:[0,1,1]
	v_pk_fma_f16 v19, 0x2de8, v21, v15 op_sel:[0,0,1] op_sel_hi:[0,1,0]
	v_pk_mul_f16 v30, 0x3a62, v30 op_sel_hi:[0,1]
	v_pk_add_f16 v4, v5, v4
	v_pk_fma_f16 v5, 0x3b29, v35, v6 op_sel:[0,0,1] op_sel_hi:[0,1,0]
	v_pk_add_f16 v3, v8, v3
	v_alignbit_b32 v6, s0, v19, 16
	v_pk_fma_f16 v12, 0xbacd, v12, v17 op_sel:[0,0,1] op_sel_hi:[0,1,0] neg_lo:[0,0,1] neg_hi:[0,0,1]
	v_alignbit_b32 v17, s0, v99, 16
	v_pk_add_f16 v4, v5, v4
	v_pk_fma_f16 v5, 0xbbb2, v38, v16 op_sel:[0,0,1] op_sel_hi:[0,1,0]
	v_pk_add_f16 v3, v6, v3
	v_pk_fma_f16 v6, 0xb8d2, v22, v30 op_sel:[0,0,1] op_sel_hi:[0,1,0]
	v_pk_mul_f16 v16, 0xb5c8, v33 op_sel_hi:[0,1]
	v_pk_fma_f16 v7, 0x3722, v18, v7 op_sel_hi:[0,1,1] neg_lo:[0,0,1] neg_hi:[0,0,1]
	v_pk_mul_f16 v34, 0xb1e1, v35 op_sel_hi:[0,1]
	v_pk_add_f16 v17, v12, v17
	v_alignbit_b32 v18, s0, v6, 16
	v_pk_fma_f16 v33, 0x3b76, v29, v16 op_sel:[0,0,1] op_sel_hi:[0,1,0]
	v_alignbit_b32 v35, s0, v7, 16
	v_mul_f16_e32 v70, 0xb461, v21
	v_bfi_b32 v12, 0xffff, v13, v12
	v_pk_add_f16 v3, v18, v3
	v_alignbit_b32 v18, s0, v33, 16
	v_pk_fma_f16 v13, 0xbbdd, v32, v34 op_sel:[0,0,1] op_sel_hi:[0,1,0]
	v_pk_add_f16 v17, v35, v17
	v_pk_fma_f16 v15, 0x2de8, v21, v15 op_sel:[0,0,1] op_sel_hi:[0,1,0] neg_lo:[0,0,1] neg_hi:[0,0,1]
	v_mul_f16_e64 v138, 0x3b76, v22
	v_add_f16_e32 v59, v63, v59
	v_sub_f16_e32 v67, v70, v67
	v_pk_add_f16 v3, v18, v3
	v_pk_add_f16 v12, v12, v99 op_sel:[0,1] op_sel_hi:[1,0]
	v_alignbit_b32 v7, v7, v8, 16
	v_alignbit_b32 v8, s0, v13, 16
	v_pk_add_f16 v17, v15, v17
	v_pk_fma_f16 v18, 0xb8d2, v22, v30 op_sel:[0,0,1] op_sel_hi:[0,1,0] neg_lo:[0,0,1] neg_hi:[0,0,1]
	v_mul_f16_e64 v154, 0x3722, v29
	v_mul_f16_e64 v134, 0x3722, v134
	;; [unrolled: 1-line block ×3, first 2 shown]
	v_add_f16_e32 v59, v67, v59
	v_sub_f16_e64 v67, v138, v71
	v_pk_mul_f16 v21, 0x3964, v38 op_sel_hi:[0,1]
	v_pk_add_f16 v7, v7, v12
	v_bfi_b32 v12, 0xffff, v19, v15
	v_pk_add_f16 v3, v8, v3
	v_pk_add_f16 v8, v18, v17
	v_pk_fma_f16 v15, 0x3b76, v29, v16 op_sel:[0,0,1] op_sel_hi:[0,1,0] neg_lo:[0,0,1] neg_hi:[0,0,1]
	v_mul_f16_e32 v79, 0xbacd, v32
	v_mul_f16_e64 v137, 0xbacd, v137
	v_add_f16_e32 v66, v89, v66
	v_sub_f16_e64 v89, v160, v91
	v_add_f16_e32 v62, v116, v62
	v_add_f16_e64 v91, v118, v134
	v_add_f16_e32 v59, v67, v59
	v_sub_f16_e64 v67, v154, v76
	v_pk_fma_f16 v16, 0x39e9, v50, v21 op_sel:[0,0,1] op_sel_hi:[0,1,0]
	v_pk_add_f16 v7, v12, v7
	v_bfi_b32 v6, 0xffff, v6, v18
	v_pk_mul_f16 v12, 0xbbb2, v47 op_sel_hi:[0,1]
	v_pk_add_f16 v8, v15, v8
	v_pk_fma_f16 v17, 0xbbdd, v32, v34 op_sel:[0,0,1] op_sel_hi:[0,1,0] neg_lo:[0,0,1] neg_hi:[0,0,1]
	v_mul_f16_e32 v64, 0xb8d2, v50
	v_mul_f16_e64 v140, 0xb8d2, v140
	v_add_f16_e32 v62, v91, v62
	v_add_f16_e64 v71, v127, v137
	v_add_f16_e32 v59, v67, v59
	v_sub_f16_e32 v67, v79, v80
	v_alignbit_b32 v18, s0, v16, 16
	v_pk_add_f16 v6, v6, v7
	v_bfi_b32 v7, 0xffff, v33, v15
	v_pk_fma_f16 v15, 0xb461, v54, v12 op_sel:[0,0,1] op_sel_hi:[0,1,0]
	v_pk_add_f16 v8, v17, v8
	v_pk_fma_f16 v19, 0x39e9, v50, v21 op_sel:[0,0,1] op_sel_hi:[0,1,0] neg_lo:[0,0,1] neg_hi:[0,0,1]
	v_mul_f16_e32 v63, 0x39e9, v54
	v_mul_f16_e64 v146, 0x39e9, v146
	v_add_f16_e32 v62, v71, v62
	v_add_f16_e64 v71, v136, v140
	v_add_f16_e32 v59, v67, v59
	v_sub_f16_e32 v64, v64, v86
	v_mul_f16_e32 v70, 0xb8d2, v54
	v_pk_mul_f16 v25, 0x2de8, v54 op_sel_hi:[0,1]
	v_pk_add_f16 v3, v18, v3
	v_pk_add_f16 v6, v7, v6
	v_bfi_b32 v7, 0xffff, v13, v17
	v_alignbit_b32 v13, s0, v15, 16
	v_pk_add_f16 v8, v19, v8
	v_pk_fma_f16 v12, 0xb461, v54, v12 op_sel:[0,0,1] op_sel_hi:[0,1,0] neg_lo:[0,0,1] neg_hi:[0,0,1]
	v_add_f16_e32 v62, v71, v62
	v_add_f16_e64 v71, v147, v146
	v_add_f16_e32 v59, v64, v59
	v_sub_f16_e32 v63, v63, v90
	v_add_f16_e32 v66, v89, v66
	v_sub_f16_e32 v70, v70, v98
	v_and_b32_e32 v9, 0xffff, v48
	v_pk_fma_f16 v31, 0x3bf7, v47, v25 op_sel:[0,0,1] op_sel_hi:[0,1,0] neg_lo:[0,1,0] neg_hi:[0,1,0]
	v_pk_add_f16 v4, v5, v4
	v_pk_add_f16 v5, v7, v6
	;; [unrolled: 1-line block ×4, first 2 shown]
	v_pk_fma_f16 v8, 0x3bf7, v47, v25 op_sel:[0,0,1] op_sel_hi:[0,1,0]
	v_bfi_b32 v6, 0xffff, v16, v19
	v_add_f16_e32 v62, v71, v62
	v_add_f16_e32 v59, v63, v59
	;; [unrolled: 1-line block ×4, first 2 shown]
	v_add_lshl_u32 v9, v45, v9, 2
	v_pk_add_f16 v2, v31, v2
	v_pack_b32_f16 v3, v7, v3
	v_pk_add_f16 v4, v8, v4
	v_pk_add_f16 v5, v6, v5
	v_bfi_b32 v6, 0xffff, v15, v12
	v_pack_b32_f16 v11, v59, v62
	v_pack_b32_f16 v7, v73, v78
	v_pack_b32_f16 v8, v66, v68
	ds_store_2addr_b32 v9, v0, v3 offset1:7
	v_alignbit_b32 v0, v2, v4, 16
	v_alignbit_b32 v2, v4, v2, 16
	v_pk_add_f16 v5, v6, v5
	v_perm_b32 v3, v42, v26, 0x5040100
	v_perm_b32 v4, v40, v28, 0x5040100
	;; [unrolled: 1-line block ×6, first 2 shown]
	ds_store_2addr_b32 v9, v1, v10 offset0:1 offset1:2
	ds_store_2addr_b32 v9, v14, v11 offset0:3 offset1:4
	;; [unrolled: 1-line block ×7, first 2 shown]
	ds_store_b32 v9, v15 offset:64
.LBB0_7:
	s_wait_alu 0xfffe
	s_or_b32 exec_lo, exec_lo, s0
	v_and_b32_e32 v0, 0xff, v44
	s_load_b128 s[4:7], s[4:5], 0x0
	global_wb scope:SCOPE_SE
	s_wait_dscnt 0x0
	s_wait_kmcnt 0x0
	s_barrier_signal -1
	s_barrier_wait -1
	v_mul_lo_u16 v0, 0xf1, v0
	global_inv scope:SCOPE_SE
	v_add_lshl_u32 v47, v45, v44, 2
	v_cmp_gt_u16_e64 s0, 17, v44
	v_lshrrev_b16 v12, 12, v0
	s_delay_alu instid0(VALU_DEP_3) | instskip(SKIP_2) | instid1(VALU_DEP_4)
	v_add_nc_u32_e32 v3, 0x400, v47
	v_add_nc_u32_e32 v17, 0x600, v47
	;; [unrolled: 1-line block ×3, first 2 shown]
	v_mul_lo_u16 v0, v12, 17
	v_and_b32_e32 v31, 0xffff, v12
	v_add_nc_u32_e32 v12, 0x200, v47
	v_add_nc_u32_e32 v32, 0xa00, v47
	s_delay_alu instid0(VALU_DEP_4) | instskip(NEXT) | instid1(VALU_DEP_4)
	v_sub_nc_u16 v0, v44, v0
	v_mul_u32_u24_e32 v31, 0xbb, v31
	s_delay_alu instid0(VALU_DEP_2) | instskip(NEXT) | instid1(VALU_DEP_1)
	v_and_b32_e32 v19, 0xff, v0
	v_mul_u32_u24_e32 v0, 10, v19
	s_delay_alu instid0(VALU_DEP_3) | instskip(NEXT) | instid1(VALU_DEP_2)
	v_add_nc_u32_e32 v19, v31, v19
	v_lshlrev_b32_e32 v0, 2, v0
	s_delay_alu instid0(VALU_DEP_2)
	v_add_lshl_u32 v50, v45, v19, 2
	s_clause 0x2
	global_load_b128 v[8:11], v0, s[2:3]
	global_load_b128 v[4:7], v0, s[2:3] offset:16
	global_load_b64 v[21:22], v0, s[2:3] offset:32
	ds_load_2addr_b32 v[0:1], v47 offset1:85
	ds_load_2addr_b32 v[13:14], v47 offset0:170 offset1:255
	ds_load_b32 v25, v47 offset:3400
	ds_load_2addr_b32 v[15:16], v3 offset0:84 offset1:169
	ds_load_2addr_b32 v[17:18], v17 offset0:126 offset1:211
	;; [unrolled: 1-line block ×3, first 2 shown]
	global_wb scope:SCOPE_SE
	s_wait_loadcnt_dscnt 0x0
	s_barrier_signal -1
	s_barrier_wait -1
	global_inv scope:SCOPE_SE
	v_lshrrev_b32_e32 v37, 16, v25
	v_lshrrev_b32_e32 v34, 16, v1
	;; [unrolled: 1-line block ×17, first 2 shown]
	v_mul_f16_e32 v19, v34, v66
	v_mul_f16_e32 v57, v1, v66
	v_lshrrev_b32_e32 v65, 16, v10
	v_lshrrev_b32_e32 v63, 16, v4
	v_mul_f16_e32 v68, v35, v67
	v_mul_f16_e32 v69, v13, v67
	;; [unrolled: 1-line block ×6, first 2 shown]
	v_fma_f16 v1, v1, v8, -v19
	v_fmac_f16_e32 v57, v34, v8
	v_lshrrev_b32_e32 v64, 16, v11
	v_lshrrev_b32_e32 v61, 16, v6
	v_mul_f16_e32 v85, v25, v59
	v_mul_f16_e32 v70, v36, v65
	;; [unrolled: 1-line block ×7, first 2 shown]
	v_fma_f16 v13, v13, v9, -v68
	v_fmac_f16_e32 v69, v35, v9
	v_fmac_f16_e32 v77, v31, v5
	v_fma_f16 v19, v29, v7, -v80
	v_fma_f16 v29, v30, v21, -v82
	;; [unrolled: 1-line block ×3, first 2 shown]
	v_add_f16_e32 v25, v0, v1
	v_add_f16_e32 v31, v33, v57
	v_mul_f16_e32 v72, v38, v64
	v_mul_f16_e32 v73, v15, v64
	;; [unrolled: 1-line block ×5, first 2 shown]
	v_fmac_f16_e32 v85, v37, v22
	v_fma_f16 v14, v14, v10, -v70
	v_fmac_f16_e32 v71, v36, v10
	v_fmac_f16_e32 v75, v53, v4
	v_add_f16_e32 v37, v13, v29
	v_sub_f16_e32 v53, v13, v29
	v_add_f16_e32 v13, v25, v13
	v_add_f16_e32 v25, v31, v69
	v_fma_f16 v15, v15, v11, -v72
	v_fmac_f16_e32 v73, v38, v11
	v_fma_f16 v16, v16, v4, -v74
	v_fma_f16 v17, v17, v5, -v76
	v_fma_f16 v18, v18, v6, -v78
	v_fmac_f16_e32 v79, v54, v6
	v_fmac_f16_e32 v81, v55, v7
	;; [unrolled: 1-line block ×3, first 2 shown]
	v_add_f16_e32 v34, v1, v30
	v_sub_f16_e32 v1, v1, v30
	v_sub_f16_e32 v36, v57, v85
	v_add_f16_e32 v35, v57, v85
	v_add_f16_e32 v55, v14, v19
	v_sub_f16_e32 v57, v14, v19
	v_add_f16_e32 v13, v13, v14
	v_add_f16_e32 v14, v25, v71
	;; [unrolled: 1-line block ×3, first 2 shown]
	v_sub_f16_e32 v54, v69, v83
	v_sub_f16_e32 v68, v71, v81
	;; [unrolled: 1-line block ×6, first 2 shown]
	v_mul_f16_e32 v31, 0xb853, v36
	v_mul_f16_e32 v69, 0xb853, v1
	v_mul_f16_e32 v86, 0xbb47, v36
	v_mul_f16_e32 v87, 0xbb47, v1
	v_mul_f16_e32 v88, 0xbbeb, v36
	v_mul_f16_e32 v89, 0xbbeb, v1
	v_mul_f16_e32 v90, 0xba0c, v36
	v_mul_f16_e32 v91, 0xba0c, v1
	v_mul_f16_e32 v36, 0xb482, v36
	v_mul_f16_e32 v1, 0xb482, v1
	v_add_f16_e32 v13, v13, v15
	v_add_f16_e32 v14, v14, v73
	;; [unrolled: 1-line block ×7, first 2 shown]
	v_mul_f16_e32 v92, 0xbb47, v54
	v_mul_f16_e32 v93, 0xbb47, v53
	;; [unrolled: 1-line block ×40, first 2 shown]
	v_fma_f16 v25, v34, 0x3abb, -v31
	v_fmamk_f16 v71, v35, 0x3abb, v69
	v_fmac_f16_e32 v31, 0x3abb, v34
	v_fma_f16 v69, v35, 0x3abb, -v69
	v_fma_f16 v124, v34, 0x36a6, -v86
	v_fmamk_f16 v125, v35, 0x36a6, v87
	v_fmac_f16_e32 v86, 0x36a6, v34
	v_fma_f16 v87, v35, 0x36a6, -v87
	;; [unrolled: 4-line block ×3, first 2 shown]
	v_fma_f16 v128, v34, 0xb93d, -v90
	v_fma_f16 v129, 0xb93d, v35, v91
	v_fmac_f16_e32 v90, 0xb93d, v34
	v_fma_f16 v130, v34, 0xbbad, -v36
	v_fma_f16 v131, 0xbbad, v35, v1
	v_fma_f16 v91, v35, 0xb93d, -v91
	v_fmac_f16_e32 v36, 0xbbad, v34
	v_fma_f16 v1, v35, 0xbbad, -v1
	v_add_f16_e32 v13, v13, v16
	v_add_f16_e32 v14, v14, v75
	v_fma_f16 v34, v37, 0x36a6, -v92
	v_fmamk_f16 v35, v38, 0x36a6, v93
	v_fmac_f16_e32 v92, 0x36a6, v37
	v_fma_f16 v93, v38, 0x36a6, -v93
	v_fma_f16 v132, v37, 0xb93d, -v94
	v_fma_f16 v133, 0xb93d, v38, v95
	v_fmac_f16_e32 v94, 0xb93d, v37
	v_fma_f16 v95, v38, 0xb93d, -v95
	v_fma_f16 v134, v37, 0xbbad, -v96
	v_fma_f16 v135, 0xbbad, v38, v97
	v_fmac_f16_e32 v96, 0xbbad, v37
	v_fma_f16 v97, v38, 0xbbad, -v97
	v_fma_f16 v136, v37, 0xb08e, -v98
	v_fma_f16 v137, 0xb08e, v38, v99
	v_fmac_f16_e32 v98, 0xb08e, v37
	v_fma_f16 v99, v38, 0xb08e, -v99
	v_fma_f16 v138, v37, 0x3abb, -v54
	v_fma_f16 v139, 0x3abb, v38, v53
	v_fmac_f16_e32 v54, 0x3abb, v37
	v_fma_f16 v37, v38, 0x3abb, -v53
	v_fma_f16 v38, v55, 0xb08e, -v100
	v_fmamk_f16 v53, v56, 0xb08e, v101
	v_fmac_f16_e32 v100, 0xb08e, v55
	v_fma_f16 v101, v56, 0xb08e, -v101
	v_fma_f16 v140, v55, 0xbbad, -v102
	v_fma_f16 v141, 0xbbad, v56, v103
	v_fmac_f16_e32 v102, 0xbbad, v55
	v_fma_f16 v103, v56, 0xbbad, -v103
	v_fma_f16 v142, v55, 0x36a6, -v104
	v_fma_f16 v143, 0x36a6, v56, v105
	v_fmac_f16_e32 v104, 0x36a6, v55
	v_fma_f16 v105, v56, 0x36a6, -v105
	v_fma_f16 v144, v55, 0x3abb, -v106
	v_fma_f16 v145, 0x3abb, v56, v107
	v_fmac_f16_e32 v106, 0x3abb, v55
	v_fma_f16 v107, v56, 0x3abb, -v107
	v_fma_f16 v146, v55, 0xb93d, -v68
	v_fma_f16 v147, 0xb93d, v56, v57
	v_fmac_f16_e32 v68, 0xb93d, v55
	v_fma_f16 v55, v56, 0xb93d, -v57
	;; [unrolled: 20-line block ×4, first 2 shown]
	v_add_f16_e32 v15, v0, v25
	v_add_f16_e32 v25, v33, v71
	;; [unrolled: 1-line block ×12, first 2 shown]
	v_add_f16_e64 v124, v0, v128
	v_add_f16_e64 v125, v33, v129
	v_add_f16_e32 v90, v0, v90
	v_add_f16_e64 v126, v0, v130
	v_add_f16_e64 v127, v33, v131
	v_add_f16_e32 v91, v33, v91
	v_add_f16_e32 v0, v0, v36
	v_add_f16_e32 v1, v33, v1
	v_add_f16_e32 v13, v13, v17
	v_add_f16_e32 v14, v14, v77
	v_add_f16_e32 v15, v34, v15
	v_add_f16_e32 v16, v35, v25
	v_add_f16_e32 v25, v92, v31
	v_add_f16_e32 v31, v93, v69
	v_add_f16_e64 v33, v132, v71
	v_add_f16_e64 v34, v133, v73
	v_add_f16_e32 v35, v94, v80
	v_add_f16_e32 v36, v95, v82
	v_add_f16_e64 v69, v134, v86
	v_add_f16_e64 v71, v135, v87
	v_add_f16_e32 v73, v96, v88
	v_add_f16_e32 v75, v97, v89
	v_add_f16_e64 v80, v136, v124
	v_add_f16_e64 v82, v137, v125
	v_add_f16_e32 v86, v98, v90
	v_add_f16_e64 v88, v138, v126
	v_add_f16_e64 v89, v139, v127
	v_add_f16_e32 v87, v99, v91
	v_add_f16_e32 v0, v54, v0
	v_add_f16_e32 v1, v37, v1
	v_add_f16_e32 v13, v13, v18
	v_add_f16_e32 v14, v14, v79
	v_add_f16_e32 v15, v38, v15
	v_add_f16_e32 v16, v53, v16
	v_add_f16_e32 v17, v100, v25
	v_add_f16_e32 v25, v101, v31
	v_add_f16_e64 v31, v140, v33
	v_add_f16_e64 v33, v141, v34
	v_add_f16_e32 v34, v102, v35
	v_add_f16_e32 v35, v103, v36
	v_add_f16_e64 v36, v142, v69
	v_add_f16_e64 v37, v143, v71
	v_add_f16_e32 v38, v104, v73
	v_add_f16_e32 v53, v105, v75
	;; [unrolled: 22-line block ×4, first 2 shown]
	v_add_f16_e64 v37, v160, v54
	v_add_f16_e64 v38, v161, v55
	v_add_f16_e32 v53, v122, v56
	v_add_f16_e64 v55, v162, v68
	v_add_f16_e64 v56, v163, v69
	v_add_f16_e32 v54, v123, v57
	v_add_f16_e32 v0, v84, v0
	;; [unrolled: 1-line block ×5, first 2 shown]
	v_pack_b32_f16 v15, v15, v16
	v_pack_b32_f16 v16, v17, v18
	;; [unrolled: 1-line block ×11, first 2 shown]
	ds_store_2addr_b32 v50, v16, v17 offset0:34 offset1:51
	ds_store_2addr_b32 v50, v18, v29 offset0:68 offset1:85
	ds_store_2addr_b32 v50, v0, v1 offset0:102 offset1:119
	ds_store_2addr_b32 v50, v30, v19 offset0:136 offset1:153
	ds_store_b32 v50, v31 offset:680
	ds_store_2addr_b32 v50, v13, v15 offset1:17
	global_wb scope:SCOPE_SE
	s_wait_dscnt 0x0
	s_barrier_signal -1
	s_barrier_wait -1
	global_inv scope:SCOPE_SE
	ds_load_2addr_b32 v[29:30], v47 offset1:85
	ds_load_2addr_b32 v[37:38], v12 offset0:59 offset1:144
	ds_load_2addr_b32 v[35:36], v3 offset0:118 offset1:203
	;; [unrolled: 1-line block ×4, first 2 shown]
	s_and_saveexec_b32 s1, s0
	s_cbranch_execz .LBB0_9
; %bb.8:
	ds_load_2addr_b32 v[25:26], v12 offset0:42 offset1:229
	ds_load_2addr_b32 v[27:28], v2 offset0:32 offset1:219
	ds_load_b32 v23, v47 offset:3672
	s_wait_dscnt 0x2
	v_lshrrev_b32_e32 v81, 16, v25
	v_lshrrev_b32_e32 v42, 16, v26
	s_wait_dscnt 0x1
	v_lshrrev_b32_e32 v41, 16, v27
	v_lshrrev_b32_e32 v40, 16, v28
	s_wait_dscnt 0x0
	v_lshrrev_b32_e32 v39, 16, v23
.LBB0_9:
	s_wait_alu 0xfffe
	s_or_b32 exec_lo, exec_lo, s1
	v_lshlrev_b32_e32 v0, 4, v44
	s_wait_dscnt 0x3
	v_lshrrev_b32_e32 v54, 16, v37
	s_wait_dscnt 0x2
	v_lshrrev_b32_e32 v55, 16, v35
	;; [unrolled: 2-line block ×4, first 2 shown]
	global_load_b128 v[16:19], v0, s[2:3] offset:680
	v_add_nc_u32_e32 v0, 0x550, v0
	v_lshrrev_b32_e32 v77, 16, v38
	v_lshrrev_b32_e32 v78, 16, v36
	v_lshrrev_b32_e32 v79, 16, v34
	v_lshrrev_b32_e32 v80, 16, v32
	global_load_b128 v[12:15], v0, s[2:3] offset:680
	v_add_co_u32 v0, s1, 0xaa, v44
	s_wait_alu 0xf1ff
	v_add_co_ci_u32_e64 v1, null, 0, 0, s1
	v_add_co_u32 v2, s1, 0xffffffef, v44
	s_wait_alu 0xf1ff
	v_add_co_ci_u32_e64 v3, null, 0, -1, s1
	v_lshrrev_b32_e32 v84, 16, v29
	s_delay_alu instid0(VALU_DEP_3) | instskip(SKIP_1) | instid1(VALU_DEP_4)
	v_cndmask_b32_e64 v0, v2, v0, s0
	v_lshrrev_b32_e32 v83, 16, v30
	v_cndmask_b32_e64 v1, v3, v1, s0
	v_lshl_add_u32 v53, v44, 2, v46
	v_add_nc_u32_e32 v76, v43, v46
	s_delay_alu instid0(VALU_DEP_3) | instskip(NEXT) | instid1(VALU_DEP_3)
	v_lshlrev_b64_e32 v[0:1], 4, v[0:1]
	v_add_nc_u32_e32 v95, 0x200, v53
	v_add_nc_u32_e32 v97, 0x800, v53
	s_delay_alu instid0(VALU_DEP_4)
	v_add_nc_u32_e32 v98, 0x400, v76
	v_add_nc_u32_e32 v99, 0xa00, v76
	v_add_co_u32 v0, s1, s2, v0
	s_wait_alu 0xf1ff
	v_add_co_ci_u32_e64 v1, s1, s3, v1, s1
	global_load_b128 v[0:3], v[0:1], off offset:680
	s_wait_loadcnt 0x2
	v_lshrrev_b32_e32 v75, 16, v16
	v_lshrrev_b32_e32 v74, 16, v17
	;; [unrolled: 1-line block ×4, first 2 shown]
	s_delay_alu instid0(VALU_DEP_4)
	v_mul_f16_e32 v82, v54, v75
	v_mul_f16_e32 v85, v37, v75
	;; [unrolled: 1-line block ×7, first 2 shown]
	s_wait_loadcnt 0x1
	v_lshrrev_b32_e32 v72, 16, v12
	v_lshrrev_b32_e32 v71, 16, v13
	;; [unrolled: 1-line block ×4, first 2 shown]
	v_mul_f16_e32 v91, v31, v70
	v_fma_f16 v37, v37, v16, -v82
	v_fmac_f16_e32 v85, v54, v16
	v_fma_f16 v35, v35, v17, -v86
	v_fmac_f16_e32 v87, v55, v17
	;; [unrolled: 2-line block ×3, first 2 shown]
	v_fma_f16 v31, v31, v19, -v90
	v_mul_f16_e32 v33, v77, v72
	v_mul_f16_e32 v86, v38, v72
	;; [unrolled: 1-line block ×6, first 2 shown]
	v_fmac_f16_e32 v91, v57, v19
	v_mul_f16_e32 v92, v34, v69
	v_mul_f16_e32 v93, v32, v68
	v_fma_f16 v38, v38, v12, -v33
	v_fmac_f16_e32 v86, v77, v12
	v_fma_f16 v77, v36, v13, -v54
	v_fmac_f16_e32 v90, v78, v13
	v_fma_f16 v34, v34, v14, -v55
	v_fma_f16 v78, v32, v15, -v56
	v_add_f16_e32 v32, v29, v37
	v_add_f16_e32 v33, v35, v82
	v_sub_f16_e32 v36, v37, v35
	v_sub_f16_e32 v88, v31, v82
	v_add_f16_e32 v94, v37, v31
	v_add_f16_e32 v101, v84, v85
	;; [unrolled: 1-line block ×3, first 2 shown]
	s_wait_loadcnt 0x0
	v_lshrrev_b32_e32 v54, 16, v0
	v_lshrrev_b32_e32 v57, 16, v1
	;; [unrolled: 1-line block ×4, first 2 shown]
	v_fmac_f16_e32 v92, v79, v14
	v_fmac_f16_e32 v93, v80, v15
	v_sub_f16_e32 v79, v85, v91
	v_sub_f16_e32 v96, v35, v37
	;; [unrolled: 1-line block ×5, first 2 shown]
	v_add_f16_e32 v106, v85, v91
	v_sub_f16_e32 v107, v87, v85
	v_sub_f16_e32 v108, v89, v91
	v_add_f16_e32 v32, v32, v35
	v_fma_f16 v33, -0.5, v33, v29
	v_add_f16_e32 v109, v36, v88
	v_fma_f16 v36, -0.5, v94, v29
	;; [unrolled: 2-line block ×3, first 2 shown]
	v_add_f16_e32 v101, v30, v38
	v_mul_f16_e32 v120, v42, v54
	v_mul_f16_e32 v121, v26, v54
	;; [unrolled: 1-line block ×8, first 2 shown]
	v_sub_f16_e32 v80, v87, v89
	v_sub_f16_e32 v103, v35, v82
	;; [unrolled: 1-line block ×3, first 2 shown]
	v_add_f16_e32 v94, v96, v100
	v_fmac_f16_e32 v84, -0.5, v106
	v_add_f16_e32 v100, v107, v108
	v_add_f16_e32 v102, v77, v34
	v_sub_f16_e32 v106, v38, v77
	v_sub_f16_e32 v107, v78, v34
	;; [unrolled: 1-line block ×3, first 2 shown]
	v_add_f16_e32 v112, v83, v86
	v_sub_f16_e32 v115, v77, v34
	v_sub_f16_e32 v118, v90, v86
	;; [unrolled: 1-line block ×3, first 2 shown]
	v_add_f16_e32 v82, v32, v82
	v_fmamk_f16 v32, v79, 0x3b9c, v33
	v_fmac_f16_e32 v33, 0xbb9c, v79
	v_add_f16_e32 v89, v29, v89
	v_fmamk_f16 v87, v37, 0xbb9c, v85
	v_fmac_f16_e32 v85, 0x3b9c, v37
	v_add_f16_e32 v77, v101, v77
	v_fma_f16 v26, v26, v0, -v120
	v_fmac_f16_e32 v121, v42, v0
	v_fma_f16 v27, v27, v1, -v122
	v_fmac_f16_e32 v123, v41, v1
	;; [unrolled: 2-line block ×4, first 2 shown]
	v_add_f16_e32 v108, v38, v78
	v_add_f16_e32 v113, v90, v92
	v_add_f16_e32 v117, v86, v93
	v_add_f16_e32 v96, v104, v105
	v_sub_f16_e32 v105, v90, v92
	v_sub_f16_e32 v111, v34, v78
	;; [unrolled: 1-line block ×4, first 2 shown]
	v_fmamk_f16 v35, v80, 0xbb9c, v36
	v_fmac_f16_e32 v36, 0x3b9c, v80
	v_fmamk_f16 v88, v103, 0x3b9c, v84
	v_fmac_f16_e32 v84, 0xbb9c, v103
	v_add_f16_e32 v101, v106, v107
	v_add_f16_e32 v90, v112, v90
	;; [unrolled: 1-line block ×4, first 2 shown]
	v_fmac_f16_e32 v32, 0x38b4, v80
	v_fmac_f16_e32 v33, 0xb8b4, v80
	v_add_f16_e32 v82, v89, v91
	v_fmac_f16_e32 v87, 0xb8b4, v103
	v_fmac_f16_e32 v85, 0x38b4, v103
	v_add_f16_e32 v23, v77, v34
	v_add_f16_e32 v42, v27, v28
	v_sub_f16_e32 v80, v26, v27
	v_sub_f16_e32 v91, v40, v28
	v_add_f16_e32 v103, v26, v40
	v_add_f16_e32 v112, v123, v125
	;; [unrolled: 1-line block ×3, first 2 shown]
	v_sub_f16_e32 v104, v86, v93
	v_sub_f16_e32 v116, v93, v92
	v_fma_f16 v29, -0.5, v102, v30
	v_fmac_f16_e32 v30, -0.5, v108
	v_fma_f16 v86, -0.5, v113, v83
	v_fmac_f16_e32 v83, -0.5, v117
	v_add_f16_e32 v102, v110, v111
	v_fmac_f16_e32 v35, 0x38b4, v79
	v_fmac_f16_e32 v36, 0xb8b4, v79
	v_add_f16_e32 v39, v90, v92
	v_add_f16_e32 v41, v25, v26
	v_sub_f16_e32 v77, v121, v127
	v_sub_f16_e32 v79, v123, v125
	;; [unrolled: 1-line block ×3, first 2 shown]
	v_add_f16_e32 v111, v81, v121
	v_sub_f16_e32 v26, v26, v40
	v_sub_f16_e32 v113, v27, v28
	v_add_f16_e32 v34, v23, v78
	v_fma_f16 v23, -0.5, v42, v25
	v_add_f16_e32 v80, v80, v91
	v_fmac_f16_e32 v25, -0.5, v103
	v_fma_f16 v91, -0.5, v112, v81
	v_fmac_f16_e32 v81, -0.5, v118
	v_add_f16_e32 v106, v38, v116
	v_fmac_f16_e32 v88, 0xb8b4, v37
	v_fmac_f16_e32 v84, 0x38b4, v37
	v_fmamk_f16 v37, v104, 0x3b9c, v29
	v_fmamk_f16 v38, v105, 0xbb9c, v30
	;; [unrolled: 1-line block ×4, first 2 shown]
	v_fmac_f16_e32 v29, 0xbb9c, v104
	v_fmac_f16_e32 v30, 0x3b9c, v105
	;; [unrolled: 1-line block ×4, first 2 shown]
	v_sub_f16_e32 v110, v28, v40
	v_sub_f16_e32 v116, v121, v123
	;; [unrolled: 1-line block ×5, first 2 shown]
	v_fmac_f16_e32 v35, 0x34f2, v94
	v_fmac_f16_e32 v36, 0x34f2, v94
	v_add_f16_e32 v92, v39, v93
	v_add_f16_e32 v27, v41, v27
	;; [unrolled: 1-line block ×3, first 2 shown]
	v_fmamk_f16 v42, v77, 0x3b9c, v23
	v_fmac_f16_e32 v23, 0xbb9c, v77
	v_fmamk_f16 v39, v79, 0xbb9c, v25
	v_fmac_f16_e32 v25, 0x3b9c, v79
	v_fmamk_f16 v94, v26, 0xbb9c, v91
	v_fmac_f16_e32 v91, 0x3b9c, v26
	v_fmamk_f16 v93, v113, 0x3b9c, v81
	v_fmac_f16_e32 v81, 0xbb9c, v113
	v_fmac_f16_e32 v37, 0x38b4, v105
	v_fmac_f16_e32 v38, 0x38b4, v104
	;; [unrolled: 1-line block ×12, first 2 shown]
	v_add_f16_e32 v100, v108, v110
	v_add_f16_e32 v103, v116, v117
	;; [unrolled: 1-line block ×5, first 2 shown]
	v_fmac_f16_e32 v42, 0x38b4, v79
	v_fmac_f16_e32 v23, 0xb8b4, v79
	;; [unrolled: 1-line block ×18, first 2 shown]
	v_pack_b32_f16 v101, v32, v87
	v_pack_b32_f16 v102, v35, v88
	v_add_f16_e32 v41, v27, v40
	v_add_f16_e32 v96, v28, v127
	v_fmac_f16_e32 v42, 0x34f2, v80
	v_fmac_f16_e32 v23, 0x34f2, v80
	v_fmac_f16_e32 v39, 0x34f2, v100
	v_fmac_f16_e32 v25, 0x34f2, v100
	v_fmac_f16_e32 v94, 0x34f2, v103
	v_fmac_f16_e32 v91, 0x34f2, v103
	v_fmac_f16_e32 v93, 0x34f2, v104
	v_fmac_f16_e32 v81, 0x34f2, v104
	v_pack_b32_f16 v105, v36, v84
	v_pack_b32_f16 v106, v33, v85
	;; [unrolled: 1-line block ×8, first 2 shown]
	ds_store_2addr_b32 v95, v101, v102 offset0:59 offset1:246
	ds_store_2addr_b32 v97, v105, v106 offset0:49 offset1:236
	ds_store_2addr_b32 v53, v78, v107 offset1:85
	ds_store_2addr_b32 v98, v108, v109 offset0:16 offset1:203
	ds_store_2addr_b32 v99, v110, v111 offset0:6 offset1:193
	s_and_saveexec_b32 s1, s0
	s_cbranch_execz .LBB0_11
; %bb.10:
	v_perm_b32 v26, v96, v41, 0x5040100
	v_perm_b32 v27, v94, v42, 0x5040100
	v_add_nc_u32_e32 v28, 0x200, v53
	v_perm_b32 v40, v93, v39, 0x5040100
	v_perm_b32 v77, v81, v25, 0x5040100
	v_add_nc_u32_e32 v78, 0x800, v53
	v_perm_b32 v79, v91, v23, 0x5040100
	ds_store_2addr_b32 v28, v26, v27 offset0:42 offset1:229
	ds_store_2addr_b32 v78, v40, v77 offset0:32 offset1:219
	ds_store_b32 v53, v79 offset:3672
.LBB0_11:
	s_wait_alu 0xfffe
	s_or_b32 exec_lo, exec_lo, s1
	global_wb scope:SCOPE_SE
	s_wait_dscnt 0x0
	s_barrier_signal -1
	s_barrier_wait -1
	global_inv scope:SCOPE_SE
	s_and_saveexec_b32 s1, vcc_lo
	s_cbranch_execz .LBB0_13
; %bb.12:
	s_add_nc_u64 s[2:3], s[8:9], 0xe9c
	s_clause 0x10
	global_load_b32 v28, v43, s[8:9] offset:3740
	global_load_b32 v40, v43, s[2:3] offset:220
	global_load_b32 v95, v43, s[2:3] offset:440
	global_load_b32 v107, v43, s[2:3] offset:660
	global_load_b32 v108, v43, s[2:3] offset:880
	global_load_b32 v109, v43, s[2:3] offset:1100
	global_load_b32 v110, v43, s[2:3] offset:1320
	global_load_b32 v111, v43, s[2:3] offset:1540
	global_load_b32 v112, v43, s[2:3] offset:1760
	global_load_b32 v113, v43, s[2:3] offset:1980
	global_load_b32 v114, v43, s[2:3] offset:2200
	global_load_b32 v115, v43, s[2:3] offset:2420
	global_load_b32 v116, v43, s[2:3] offset:2640
	global_load_b32 v117, v43, s[2:3] offset:2860
	global_load_b32 v118, v43, s[2:3] offset:3080
	global_load_b32 v119, v43, s[2:3] offset:3300
	global_load_b32 v120, v43, s[2:3] offset:3520
	v_add_nc_u32_e32 v121, 0x200, v53
	v_add_nc_u32_e32 v122, 0x400, v53
	ds_load_2addr_b32 v[26:27], v53 offset1:55
	v_add_nc_u32_e32 v124, 0x800, v53
	ds_load_2addr_b32 v[77:78], v53 offset0:110 offset1:165
	ds_load_b32 v123, v53 offset:3520
	ds_load_2addr_b32 v[79:80], v121 offset0:92 offset1:147
	v_add_nc_u32_e32 v125, 0xc00, v53
	ds_load_2addr_b32 v[97:98], v122 offset0:74 offset1:129
	ds_load_2addr_b32 v[99:100], v122 offset0:184 offset1:239
	;; [unrolled: 1-line block ×5, first 2 shown]
	s_wait_dscnt 0x8
	v_lshrrev_b32_e32 v126, 16, v26
	v_lshrrev_b32_e32 v127, 16, v27
	s_wait_dscnt 0x7
	v_lshrrev_b32_e32 v128, 16, v77
	v_lshrrev_b32_e32 v129, 16, v78
	;; [unrolled: 3-line block ×5, first 2 shown]
	v_lshrrev_b32_e32 v130, 16, v123
	s_wait_dscnt 0x2
	v_lshrrev_b32_e32 v137, 16, v101
	v_lshrrev_b32_e32 v138, 16, v102
	s_wait_dscnt 0x1
	v_lshrrev_b32_e32 v139, 16, v103
	;; [unrolled: 3-line block ×3, first 2 shown]
	v_lshrrev_b32_e32 v142, 16, v106
	s_wait_loadcnt 0x10
	v_lshrrev_b32_e32 v143, 16, v28
	s_wait_loadcnt 0xf
	v_lshrrev_b32_e32 v144, 16, v40
	s_wait_loadcnt 0xe
	v_lshrrev_b32_e32 v145, 16, v95
	s_wait_loadcnt 0xd
	v_lshrrev_b32_e32 v146, 16, v107
	s_wait_loadcnt 0xc
	v_lshrrev_b32_e32 v147, 16, v108
	s_wait_loadcnt 0xb
	v_lshrrev_b32_e32 v148, 16, v109
	s_wait_loadcnt 0xa
	v_lshrrev_b32_e32 v149, 16, v110
	s_wait_loadcnt 0x9
	v_lshrrev_b32_e32 v150, 16, v111
	s_wait_loadcnt 0x8
	v_lshrrev_b32_e32 v151, 16, v112
	s_wait_loadcnt 0x7
	v_lshrrev_b32_e32 v152, 16, v113
	s_wait_loadcnt 0x6
	v_lshrrev_b32_e32 v153, 16, v114
	s_wait_loadcnt 0x5
	v_lshrrev_b32_e32 v154, 16, v115
	s_wait_loadcnt 0x4
	v_lshrrev_b32_e32 v155, 16, v116
	s_wait_loadcnt 0x3
	v_lshrrev_b32_e32 v156, 16, v117
	s_wait_loadcnt 0x2
	v_lshrrev_b32_e32 v157, 16, v118
	s_wait_loadcnt 0x1
	v_lshrrev_b32_e32 v158, 16, v119
	s_wait_loadcnt 0x0
	v_lshrrev_b32_e32 v159, 16, v120
	v_mul_f16_e64 v160, v126, v143
	v_mul_f16_e64 v143, v26, v143
	;; [unrolled: 1-line block ×34, first 2 shown]
	v_fma_f16 v26, v26, v28, -v160
	v_fmac_f16_e64 v143, v126, v28
	v_fma_f16 v27, v27, v40, -v161
	v_fmac_f16_e64 v144, v127, v40
	;; [unrolled: 2-line block ×17, first 2 shown]
	v_pack_b32_f16 v26, v26, v143
	v_pack_b32_f16 v27, v27, v144
	;; [unrolled: 1-line block ×17, first 2 shown]
	ds_store_2addr_b32 v53, v26, v27 offset1:55
	ds_store_2addr_b32 v53, v28, v40 offset0:110 offset1:165
	ds_store_2addr_b32 v121, v77, v78 offset0:92 offset1:147
	;; [unrolled: 1-line block ×7, first 2 shown]
	ds_store_b32 v53, v104 offset:3520
.LBB0_13:
	s_wait_alu 0xfffe
	s_or_b32 exec_lo, exec_lo, s1
	global_wb scope:SCOPE_SE
	s_wait_dscnt 0x0
	s_barrier_signal -1
	s_barrier_wait -1
	global_inv scope:SCOPE_SE
	s_and_saveexec_b32 s1, vcc_lo
	s_cbranch_execz .LBB0_15
; %bb.14:
	v_add_nc_u32_e32 v23, 0x200, v53
	v_add_nc_u32_e32 v24, 0x400, v53
	ds_load_2addr_b32 v[31:32], v53 offset1:55
	ds_load_2addr_b32 v[35:36], v53 offset0:110 offset1:165
	ds_load_2addr_b32 v[33:34], v23 offset0:92 offset1:147
	v_add_nc_u32_e32 v23, 0x800, v53
	ds_load_2addr_b32 v[37:38], v24 offset0:74 offset1:129
	ds_load_2addr_b32 v[28:29], v24 offset0:184 offset1:239
	v_add_nc_u32_e32 v24, 0xc00, v53
	ds_load_2addr_b32 v[41:42], v23 offset0:38 offset1:93
	ds_load_2addr_b32 v[39:40], v23 offset0:148 offset1:203
	;; [unrolled: 1-line block ×3, first 2 shown]
	ds_load_b32 v49, v53 offset:3520
	s_wait_dscnt 0x8
	v_lshrrev_b32_e32 v82, 16, v31
	v_lshrrev_b32_e32 v87, 16, v32
	s_wait_dscnt 0x7
	v_lshrrev_b32_e32 v88, 16, v35
	v_lshrrev_b32_e32 v84, 16, v36
	;; [unrolled: 3-line block ×3, first 2 shown]
	s_wait_dscnt 0x2
	v_mov_b32_e32 v25, v40
	v_lshrrev_b32_e32 v90, 16, v37
	v_lshrrev_b32_e32 v89, 16, v38
	;; [unrolled: 1-line block ×8, first 2 shown]
	s_wait_dscnt 0x1
	v_lshrrev_b32_e32 v91, 16, v23
	v_lshrrev_b32_e32 v52, 16, v24
	s_wait_dscnt 0x0
	v_lshrrev_b32_e32 v51, 16, v49
	v_mov_b32_e32 v30, v28
.LBB0_15:
	s_wait_alu 0xfffe
	s_or_b32 exec_lo, exec_lo, s1
	s_delay_alu instid0(VALU_DEP_2)
	v_sub_f16_e64 v187, v87, v51
	v_add_f16_e32 v103, v51, v87
	v_add_f16_e64 v172, v49, v32
	v_sub_f16_e32 v105, v88, v52
	v_sub_f16_e32 v95, v32, v49
	v_mul_f16_e64 v188, 0xbb29, v187
	v_mul_f16_e64 v146, 0x3722, v103
	v_mul_f16_e32 v124, 0x2de8, v103
	v_add_f16_e32 v107, v52, v88
	v_add_f16_e32 v97, v24, v35
	v_fma_f16 v26, v172, 0x3722, -v188
	v_mul_f16_e64 v152, 0xba62, v105
	v_mul_f16_e64 v189, 0xbbf7, v187
	;; [unrolled: 1-line block ×3, first 2 shown]
	v_fma_f16 v27, 0xbb29, v95, v146
	v_fmamk_f16 v40, v95, 0xbbf7, v124
	v_add_f16_e32 v26, v31, v26
	v_mul_f16_e64 v191, 0xba62, v187
	v_sub_f16_e32 v98, v35, v24
	v_mul_f16_e64 v155, 0xb8d2, v107
	v_fma_f16 v99, v97, 0xb8d2, -v152
	v_mul_f16_e64 v131, 0xbbdd, v107
	v_mul_f16_e64 v128, 0xb461, v103
	v_fma_f16 v28, v172, 0x2de8, -v189
	v_fma_f16 v77, v172, 0xb461, -v190
	v_add_f16_e32 v27, v82, v27
	v_add_f16_e32 v40, v82, v40
	v_mul_f16_e32 v114, 0xb8d2, v103
	v_fma_f16 v79, v172, 0xb8d2, -v191
	v_mul_f16_e32 v125, 0xb1e1, v105
	v_fma_f16 v100, 0xba62, v98, v155
	v_add_f16_e32 v26, v99, v26
	v_mul_f16_e64 v135, 0x3836, v105
	v_fma_f16 v99, 0xb1e1, v98, v131
	v_mul_f16_e32 v116, 0x3bb2, v105
	v_fma_f16 v78, 0xbbb2, v95, v128
	v_add_f16_e32 v28, v31, v28
	v_add_f16_e32 v77, v31, v77
	v_fmamk_f16 v80, v95, 0xba62, v114
	v_add_f16_e32 v79, v31, v79
	v_fma_f16 v101, v97, 0xbbdd, -v125
	v_add_f16_e32 v27, v100, v27
	v_mul_f16_e64 v139, 0xbacd, v107
	v_fma_f16 v100, v97, 0xbacd, -v135
	v_mul_f16_e32 v120, 0xb461, v107
	v_add_f16_e32 v40, v99, v40
	v_fma_f16 v99, v97, 0xb461, -v116
	v_sub_f16_e32 v109, v84, v91
	v_add_f16_e32 v78, v82, v78
	v_add_f16_e32 v80, v82, v80
	;; [unrolled: 1-line block ×3, first 2 shown]
	v_fma_f16 v101, 0x3836, v98, v139
	v_add_f16_e32 v77, v100, v77
	v_fmamk_f16 v100, v98, 0x3bb2, v120
	v_add_f16_e32 v79, v99, v79
	v_add_f16_e32 v111, v91, v84
	;; [unrolled: 1-line block ×3, first 2 shown]
	v_mul_f16_e64 v161, 0x31e1, v109
	v_add_f16_e32 v78, v101, v78
	v_add_f16_e32 v80, v100, v80
	v_sub_f16_e32 v100, v36, v23
	v_mul_f16_e64 v164, 0xbbdd, v111
	v_fma_f16 v101, v99, 0xbbdd, -v161
	v_mul_f16_e64 v143, 0x3964, v109
	v_mul_f16_e64 v133, 0x3bb2, v109
	;; [unrolled: 1-line block ×3, first 2 shown]
	v_fma_f16 v102, 0x31e1, v100, v164
	v_add_f16_e32 v26, v101, v26
	v_fma_f16 v101, v99, 0x39e9, -v143
	v_mul_f16_e64 v148, 0x39e9, v111
	v_sub_f16_e32 v113, v85, v81
	v_fma_f16 v104, v99, 0xb461, -v133
	v_fma_f16 v106, 0x3bb2, v100, v138
	v_add_f16_e32 v27, v102, v27
	v_add_f16_e32 v77, v101, v77
	v_mul_f16_e32 v123, 0xb5c8, v109
	v_mul_f16_e32 v127, 0x3b76, v111
	v_fma_f16 v102, 0x3964, v100, v148
	v_add_f16_e32 v101, v25, v33
	v_mul_f16_e64 v168, 0x3bb2, v113
	v_add_f16_e32 v117, v81, v85
	v_add_f16_e32 v28, v104, v28
	;; [unrolled: 1-line block ×3, first 2 shown]
	v_fma_f16 v104, v99, 0x3b76, -v123
	v_fmamk_f16 v106, v100, 0xb5c8, v127
	v_add_f16_e32 v78, v102, v78
	v_fma_f16 v108, v101, 0xb461, -v168
	v_sub_f16_e32 v102, v33, v25
	v_mul_f16_e64 v170, 0xb461, v117
	v_mul_f16_e64 v142, 0x35c8, v113
	;; [unrolled: 1-line block ×3, first 2 shown]
	v_add_f16_e32 v79, v104, v79
	v_add_f16_e32 v80, v106, v80
	;; [unrolled: 1-line block ×3, first 2 shown]
	v_mul_f16_e64 v151, 0xbb29, v113
	v_fma_f16 v104, 0x3bb2, v102, v170
	v_mul_f16_e64 v156, 0x3722, v117
	v_fma_f16 v106, v101, 0x3b76, -v142
	v_fma_f16 v108, 0x35c8, v102, v145
	v_mul_f16_e64 v129, 0xb836, v113
	v_add_f16_e32 v122, v93, v92
	v_fma_f16 v110, v101, 0x3722, -v151
	v_add_f16_e32 v27, v104, v27
	v_fma_f16 v104, 0xbb29, v102, v156
	v_add_f16_e32 v28, v106, v28
	v_add_f16_e32 v40, v108, v40
	v_sub_f16_e32 v121, v92, v93
	v_mul_f16_e64 v134, 0xbacd, v117
	v_fma_f16 v108, v101, 0xbacd, -v129
	v_sub_f16_e32 v106, v34, v39
	v_mul_f16_e64 v179, 0x39e9, v122
	v_add_f16_e32 v77, v110, v77
	v_add_f16_e32 v78, v104, v78
	;; [unrolled: 1-line block ×3, first 2 shown]
	v_fma_f16 v110, 0xb836, v102, v134
	v_mul_f16_e64 v149, 0xbb29, v121
	v_add_f16_e32 v79, v108, v79
	v_fma_f16 v108, 0x3964, v106, v179
	v_mul_f16_e64 v154, 0x3722, v122
	v_mul_f16_e64 v175, 0x3964, v121
	v_add_f16_e32 v80, v110, v80
	v_fma_f16 v110, v104, 0x3722, -v149
	v_add_f16_e32 v27, v108, v27
	v_mul_f16_e64 v159, 0xb1e1, v121
	v_fma_f16 v108, 0xbb29, v106, v154
	v_mul_f16_e64 v136, 0x3bf7, v121
	v_fma_f16 v112, v104, 0x39e9, -v175
	v_add_f16_e32 v28, v110, v28
	v_mul_f16_e64 v165, 0xbbdd, v122
	v_fma_f16 v110, v104, 0xbbdd, -v159
	v_mul_f16_e64 v141, 0x2de8, v122
	v_add_f16_e32 v40, v108, v40
	v_fma_f16 v108, v104, 0x2de8, -v136
	v_sub_f16_e32 v126, v90, v94
	v_add_f16_e32 v26, v112, v26
	v_fma_f16 v112, 0xb1e1, v106, v165
	v_add_f16_e32 v77, v110, v77
	v_fma_f16 v110, 0x3bf7, v106, v141
	v_add_f16_e32 v79, v108, v79
	v_add_f16_e64 v130, v94, v90
	v_add_f16_e32 v108, v42, v37
	v_mul_f16_e64 v181, 0xb5c8, v126
	v_add_f16_e32 v78, v112, v78
	v_add_f16_e32 v80, v110, v80
	v_sub_f16_e32 v110, v37, v42
	v_mul_f16_e64 v182, 0x3b76, v130
	v_fma_f16 v112, v108, 0x3b76, -v181
	v_mul_f16_e64 v166, 0x3bf7, v126
	v_mul_f16_e64 v171, 0x2de8, v130
	v_sub_f16_e64 v132, v89, v96
	v_fma_f16 v115, 0xb5c8, v110, v182
	v_add_f16_e32 v26, v112, v26
	v_fma_f16 v112, v108, 0x2de8, -v166
	v_mul_f16_e64 v158, 0xb836, v126
	v_mul_f16_e64 v163, 0xbacd, v130
	v_add_f16_e32 v27, v115, v27
	v_fma_f16 v115, 0x3bf7, v110, v171
	v_add_f16_e32 v77, v112, v77
	v_add_f16_e32 v112, v41, v38
	v_mul_f16_e64 v183, 0xbbf7, v132
	v_add_f16_e64 v140, v96, v89
	v_fma_f16 v118, v108, 0xbacd, -v158
	v_fma_f16 v119, 0xb836, v110, v163
	v_mul_f16_e64 v147, 0xb964, v126
	v_mul_f16_e64 v150, 0x39e9, v130
	v_add_f16_e32 v78, v115, v78
	v_fma_f16 v137, v112, 0x2de8, -v183
	v_sub_f16_e32 v115, v38, v41
	v_mul_f16_e64 v169, 0xb8d2, v140
	v_mul_f16_e64 v174, 0xb5c8, v132
	v_add_f16_e32 v28, v118, v28
	v_add_f16_e32 v40, v119, v40
	v_fma_f16 v118, v108, 0x39e9, -v147
	v_fma_f16 v119, 0xb964, v110, v150
	v_mul_f16_e64 v184, 0x2de8, v140
	v_add_f16_e64 v26, v137, v26
	v_mul_f16_e64 v167, 0x3a62, v132
	v_mul_f16_e64 v177, 0x3b76, v140
	v_fma_f16 v137, 0x3a62, v115, v169
	v_fma_f16 v144, v112, 0x3b76, -v174
	v_add_f16_e32 v79, v118, v79
	v_add_f16_e32 v80, v119, v80
	v_fma_f16 v118, 0xbbf7, v115, v184
	v_fma_f16 v119, v112, 0xb8d2, -v167
	v_fma_f16 v153, 0xb5c8, v115, v177
	v_add_f16_e64 v192, v137, v40
	v_add_f16_e64 v193, v144, v77
	v_sub_f16_e64 v137, v83, v86
	v_add_f16_e64 v144, v86, v83
	v_add_f16_e32 v27, v118, v27
	v_add_f16_e32 v28, v119, v28
	v_add_f16_e64 v78, v153, v78
	v_mul_f16_e64 v153, 0xb1e1, v132
	v_mul_f16_e64 v157, 0xbbdd, v140
	v_add_f16_e32 v118, v29, v30
	v_sub_f16_e32 v119, v30, v29
	v_mul_f16_e64 v185, 0xb836, v137
	v_mul_f16_e64 v186, 0xbacd, v144
	v_fma_f16 v40, v112, 0xbbdd, -v153
	v_fma_f16 v77, 0xb1e1, v115, v157
	v_mul_f16_e64 v173, 0x3964, v137
	v_fma_f16 v160, v118, 0xbacd, -v185
	v_fma_f16 v162, 0xb836, v119, v186
	v_add_f16_e64 v194, v40, v79
	v_add_f16_e64 v195, v77, v80
	v_mul_f16_e64 v176, 0x39e9, v144
	v_add_f16_e64 v40, v160, v26
	v_add_f16_e64 v77, v162, v27
	v_mul_f16_e64 v178, 0xba62, v137
	v_mul_f16_e64 v180, 0xb8d2, v144
	;; [unrolled: 1-line block ×4, first 2 shown]
	v_fma_f16 v79, v118, 0x39e9, -v173
	v_fma_f16 v26, 0x3964, v119, v176
	v_fma_f16 v27, v118, 0xb8d2, -v178
	v_fma_f16 v80, 0xba62, v119, v180
	;; [unrolled: 2-line block ×3, first 2 shown]
	v_add_f16_e32 v28, v79, v28
	v_add_f16_e64 v79, v26, v192
	v_add_f16_e64 v27, v27, v193
	v_add_f16_e32 v80, v80, v78
	v_add_f16_e64 v26, v196, v194
	v_add_f16_e64 v78, v197, v195
	global_wb scope:SCOPE_SE
	s_barrier_signal -1
	s_barrier_wait -1
	global_inv scope:SCOPE_SE
	s_and_saveexec_b32 s1, vcc_lo
	s_cbranch_execz .LBB0_17
; %bb.16:
	v_add_f16_e32 v32, v32, v31
	v_and_b32_e32 v48, 0xffff, v48
	s_delay_alu instid0(VALU_DEP_2) | instskip(SKIP_1) | instid1(VALU_DEP_3)
	v_add_f16_e32 v32, v35, v32
	v_mul_f16_e64 v35, 0xb836, v187
	v_lshl_add_u32 v46, v48, 2, v46
	s_delay_alu instid0(VALU_DEP_3) | instskip(SKIP_1) | instid1(VALU_DEP_2)
	v_add_f16_e32 v32, v36, v32
	v_mul_f16_e64 v36, 0xb964, v187
	v_add_f16_e32 v32, v33, v32
	v_mul_f16_e64 v33, 0x3722, v172
	s_delay_alu instid0(VALU_DEP_2) | instskip(SKIP_1) | instid1(VALU_DEP_3)
	v_add_f16_e32 v32, v34, v32
	v_mul_f16_e64 v34, 0xb1e1, v187
	v_add_f16_e64 v33, v33, v188
	s_delay_alu instid0(VALU_DEP_3) | instskip(SKIP_1) | instid1(VALU_DEP_2)
	v_add_f16_e32 v32, v37, v32
	v_mul_f16_e64 v37, 0xb5c8, v187
	v_add_f16_e32 v32, v38, v32
	v_fma_f16 v38, 0xbbdd, v172, v34
	v_fma_f16 v34, v172, 0xbbdd, -v34
	s_delay_alu instid0(VALU_DEP_3) | instskip(SKIP_1) | instid1(VALU_DEP_3)
	v_add_f16_e32 v30, v30, v32
	v_mul_f16_e64 v32, 0x2de8, v172
	v_add_f16_e64 v193, v31, v34
	v_mul_f16_e32 v34, 0x39e9, v107
	s_delay_alu instid0(VALU_DEP_4) | instskip(SKIP_2) | instid1(VALU_DEP_3)
	v_add_f16_e32 v29, v29, v30
	v_mul_f16_e64 v30, 0xb461, v172
	v_add_f16_e64 v32, v32, v189
	v_add_f16_e32 v29, v41, v29
	s_delay_alu instid0(VALU_DEP_3)
	v_add_f16_e64 v30, v30, v190
	v_fma_f16 v41, 0x39e9, v172, v36
	v_fma_f16 v36, v172, 0x39e9, -v36
	v_add_f16_e64 v190, v31, v32
	v_add_f16_e32 v29, v42, v29
	v_fma_f16 v42, 0x3b76, v172, v37
	v_fma_f16 v37, v172, 0x3b76, -v37
	v_add_f16_e64 v189, v31, v30
	v_add_f16_e64 v192, v31, v41
	v_add_f16_e32 v29, v39, v29
	v_fma_f16 v39, 0xbacd, v172, v35
	v_fma_f16 v35, v172, 0xbacd, -v35
	v_add_f16_e32 v32, v31, v42
	v_add_f16_e32 v30, v31, v37
	;; [unrolled: 1-line block ×3, first 2 shown]
	v_mul_f16_e64 v25, 0xb8d2, v172
	v_add_f16_e64 v194, v31, v35
	v_mul_f16_e32 v35, 0x3b76, v103
	v_add_f16_e64 v172, v31, v38
	v_add_f16_e32 v23, v23, v29
	v_add_f16_e64 v25, v25, v191
	v_add_f16_e64 v191, v31, v33
	v_fmamk_f16 v29, v98, 0x3964, v34
	v_mul_f16_e32 v33, 0x3722, v111
	v_add_f16_e64 v195, v24, v23
	v_add_f16_e32 v23, v87, v82
	v_fmamk_f16 v24, v95, 0x35c8, v35
	v_add_f16_e64 v187, v31, v39
	v_add_f16_e64 v188, v31, v25
	v_add_f16_e32 v25, v31, v36
	v_add_f16_e32 v23, v88, v23
	;; [unrolled: 1-line block ×3, first 2 shown]
	v_mul_f16_e32 v31, 0x2de8, v117
	v_mul_f16_e32 v41, 0xb964, v105
	;; [unrolled: 1-line block ×3, first 2 shown]
	v_add_f16_e32 v23, v84, v23
	v_add_f16_e32 v24, v29, v24
	v_fmamk_f16 v29, v100, 0x3b29, v33
	v_mul_f16_e32 v39, 0xbbf7, v113
	v_add_f16_e64 v49, v49, v195
	v_add_f16_e32 v23, v85, v23
	v_fmac_f16_e32 v35, 0xb5c8, v95
	v_add_f16_e32 v24, v29, v24
	v_fmamk_f16 v29, v102, 0x3bf7, v31
	v_fmac_f16_e32 v34, 0xb964, v98
	v_add_f16_e32 v23, v92, v23
	v_mul_f16_e64 v92, 0xb461, v130
	v_add_f16_e32 v35, v82, v35
	v_add_f16_e32 v24, v29, v24
	v_mul_f16_e32 v29, 0xb461, v122
	v_add_f16_e32 v36, v90, v23
	v_fmac_f16_e32 v33, 0xbb29, v100
	v_add_f16_e32 v34, v34, v35
	v_fmac_f16_e32 v31, 0xbbf7, v102
	v_fmamk_f16 v23, v106, 0x3bb2, v29
	v_fmac_f16_e32 v29, 0xbbb2, v106
	s_delay_alu instid0(VALU_DEP_4) | instskip(NEXT) | instid1(VALU_DEP_3)
	v_add_f16_e32 v33, v33, v34
	v_add_f16_e32 v24, v23, v24
	v_mul_f16_e64 v23, 0xb8d2, v130
	s_delay_alu instid0(VALU_DEP_3) | instskip(NEXT) | instid1(VALU_DEP_2)
	v_add_f16_e32 v31, v31, v33
	v_fmamk_f16 v37, v110, 0x3a62, v23
	v_fmac_f16_e32 v23, 0xba62, v110
	s_delay_alu instid0(VALU_DEP_3) | instskip(NEXT) | instid1(VALU_DEP_3)
	v_add_f16_e32 v29, v29, v31
	v_add_f16_e32 v37, v37, v24
	;; [unrolled: 1-line block ×3, first 2 shown]
	v_fmamk_f16 v36, v97, 0x39e9, v41
	v_fma_f16 v41, v97, 0x39e9, -v41
	v_add_f16_e32 v23, v23, v29
	s_delay_alu instid0(VALU_DEP_3) | instskip(SKIP_4) | instid1(VALU_DEP_4)
	v_add_f16_e32 v32, v36, v32
	v_add_f16_e32 v36, v83, v24
	v_mul_f16_e64 v24, 0xbacd, v140
	v_add_f16_e32 v30, v41, v30
	v_fma_f16 v41, v99, 0x3722, -v42
	v_add_f16_e32 v36, v86, v36
	s_delay_alu instid0(VALU_DEP_4) | instskip(SKIP_1) | instid1(VALU_DEP_4)
	v_fmamk_f16 v38, v115, 0x3836, v24
	v_mul_f16_e64 v86, 0xb1e1, v137
	v_add_f16_e32 v30, v41, v30
	v_fmac_f16_e32 v24, 0xb836, v115
	v_add_f16_e32 v36, v96, v36
	v_add_f16_e32 v38, v38, v37
	v_fmamk_f16 v37, v99, 0x3722, v42
	v_fmamk_f16 v87, v118, 0xbbdd, v86
	v_add_f16_e32 v23, v24, v23
	v_add_f16_e32 v36, v94, v36
	s_delay_alu instid0(VALU_DEP_4) | instskip(SKIP_1) | instid1(VALU_DEP_3)
	v_add_f16_e32 v32, v37, v32
	v_fmamk_f16 v37, v101, 0x2de8, v39
	v_add_f16_e32 v36, v93, v36
	v_fmamk_f16 v93, v110, 0xbbb2, v92
	v_fmac_f16_e32 v92, 0x3bb2, v110
	s_delay_alu instid0(VALU_DEP_4) | instskip(SKIP_2) | instid1(VALU_DEP_2)
	v_add_f16_e32 v32, v37, v32
	v_mul_f16_e32 v37, 0xbbb2, v121
	v_add_f16_e32 v36, v81, v36
	v_fmamk_f16 v83, v104, 0xb461, v37
	s_delay_alu instid0(VALU_DEP_1) | instskip(SKIP_1) | instid1(VALU_DEP_1)
	v_add_f16_e32 v83, v83, v32
	v_mul_f16_e64 v32, 0xbbdd, v144
	v_fmamk_f16 v84, v119, 0x31e1, v32
	v_fmac_f16_e32 v32, 0xb1e1, v119
	s_delay_alu instid0(VALU_DEP_2) | instskip(SKIP_1) | instid1(VALU_DEP_3)
	v_add_f16_e32 v84, v84, v38
	v_mul_f16_e32 v38, 0xba62, v126
	v_add_f16_e32 v23, v32, v23
	v_perm_b32 v32, v80, v27, 0x5040100
	s_delay_alu instid0(VALU_DEP_3) | instskip(NEXT) | instid1(VALU_DEP_1)
	v_fmamk_f16 v81, v108, 0xb8d2, v38
	v_add_f16_e32 v81, v81, v83
	v_add_f16_e32 v83, v91, v36
	v_mul_f16_e64 v36, 0xb836, v132
	s_delay_alu instid0(VALU_DEP_2) | instskip(NEXT) | instid1(VALU_DEP_2)
	v_add_f16_e32 v52, v52, v83
	v_fmamk_f16 v85, v112, 0xbacd, v36
	v_mul_f16_e32 v83, 0xbb29, v95
	s_delay_alu instid0(VALU_DEP_3) | instskip(NEXT) | instid1(VALU_DEP_3)
	v_add_f16_e32 v51, v51, v52
	v_add_f16_e32 v81, v85, v81
	s_delay_alu instid0(VALU_DEP_3) | instskip(SKIP_1) | instid1(VALU_DEP_4)
	v_sub_f16_e64 v83, v146, v83
	v_mul_f16_e32 v85, 0xba62, v98
	v_pack_b32_f16 v49, v49, v51
	s_delay_alu instid0(VALU_DEP_4) | instskip(NEXT) | instid1(VALU_DEP_4)
	v_add_f16_e32 v81, v87, v81
	v_add_f16_e32 v83, v82, v83
	s_delay_alu instid0(VALU_DEP_4) | instskip(SKIP_1) | instid1(VALU_DEP_4)
	v_sub_f16_e64 v85, v155, v85
	v_mul_f16_e32 v87, 0xbbdd, v99
	v_pack_b32_f16 v48, v81, v84
	v_mul_f16_e32 v84, 0xb836, v119
	s_delay_alu instid0(VALU_DEP_4) | instskip(SKIP_2) | instid1(VALU_DEP_4)
	v_add_f16_e32 v83, v85, v83
	v_mul_f16_e32 v85, 0x31e1, v100
	v_add_f16_e64 v87, v87, v161
	v_sub_f16_e64 v84, v186, v84
	s_delay_alu instid0(VALU_DEP_3) | instskip(NEXT) | instid1(VALU_DEP_1)
	v_sub_f16_e64 v85, v164, v85
	v_add_f16_e32 v52, v85, v83
	v_mul_f16_e32 v83, 0x3bb2, v102
	v_mul_f16_e32 v85, 0xb8d2, v97
	s_delay_alu instid0(VALU_DEP_2) | instskip(NEXT) | instid1(VALU_DEP_2)
	v_sub_f16_e64 v83, v170, v83
	v_add_f16_e64 v85, v85, v152
	s_delay_alu instid0(VALU_DEP_2) | instskip(SKIP_1) | instid1(VALU_DEP_3)
	v_add_f16_e32 v52, v83, v52
	v_mul_f16_e32 v83, 0x3964, v106
	v_add_f16_e64 v85, v85, v191
	s_delay_alu instid0(VALU_DEP_2) | instskip(NEXT) | instid1(VALU_DEP_2)
	v_sub_f16_e64 v83, v179, v83
	v_add_f16_e32 v85, v87, v85
	v_mul_f16_e32 v87, 0xb461, v101
	s_delay_alu instid0(VALU_DEP_3) | instskip(SKIP_1) | instid1(VALU_DEP_3)
	v_add_f16_e32 v52, v83, v52
	v_mul_f16_e32 v83, 0xb5c8, v110
	v_add_f16_e64 v87, v87, v168
	s_delay_alu instid0(VALU_DEP_2) | instskip(NEXT) | instid1(VALU_DEP_2)
	v_sub_f16_e64 v83, v182, v83
	v_add_f16_e32 v85, v87, v85
	v_mul_f16_e32 v87, 0x39e9, v104
	s_delay_alu instid0(VALU_DEP_3) | instskip(SKIP_1) | instid1(VALU_DEP_3)
	;; [unrolled: 8-line block ×3, first 2 shown]
	v_add_f16_e32 v52, v83, v52
	v_mul_f16_e32 v83, 0x3b76, v108
	v_fmamk_f16 v88, v98, 0x3bf7, v87
	v_fmac_f16_e32 v87, 0xbbf7, v98
	s_delay_alu instid0(VALU_DEP_4) | instskip(NEXT) | instid1(VALU_DEP_4)
	v_add_f16_e32 v52, v84, v52
	v_add_f16_e64 v83, v83, v181
	v_mul_f16_e32 v84, 0x39e9, v103
	s_delay_alu instid0(VALU_DEP_2) | instskip(SKIP_1) | instid1(VALU_DEP_3)
	v_add_f16_e32 v81, v83, v81
	v_mul_f16_e32 v83, 0x2de8, v112
	v_fmamk_f16 v85, v95, 0x3964, v84
	v_fmac_f16_e32 v84, 0xb964, v95
	s_delay_alu instid0(VALU_DEP_3) | instskip(NEXT) | instid1(VALU_DEP_3)
	v_add_f16_e64 v83, v83, v183
	v_add_f16_e32 v85, v82, v85
	s_delay_alu instid0(VALU_DEP_2) | instskip(SKIP_1) | instid1(VALU_DEP_3)
	v_add_f16_e32 v81, v83, v81
	v_mul_f16_e32 v83, 0xbacd, v118
	v_add_f16_e32 v85, v88, v85
	v_mul_f16_e32 v88, 0xb8d2, v111
	s_delay_alu instid0(VALU_DEP_3) | instskip(NEXT) | instid1(VALU_DEP_2)
	v_add_f16_e64 v83, v83, v185
	v_fmamk_f16 v89, v100, 0x3a62, v88
	v_fmac_f16_e32 v88, 0xba62, v100
	s_delay_alu instid0(VALU_DEP_3) | instskip(SKIP_1) | instid1(VALU_DEP_4)
	v_add_f16_e32 v81, v83, v81
	v_mul_f16_e32 v83, 0xbbdd, v117
	v_add_f16_e32 v85, v89, v85
	s_delay_alu instid0(VALU_DEP_3) | instskip(NEXT) | instid1(VALU_DEP_3)
	v_pack_b32_f16 v51, v81, v52
	v_fmamk_f16 v89, v102, 0x31e1, v83
	v_mul_f16_e32 v81, 0xbacd, v97
	v_fmac_f16_e32 v83, 0xb1e1, v102
	s_delay_alu instid0(VALU_DEP_3) | instskip(SKIP_1) | instid1(VALU_DEP_4)
	v_add_f16_e32 v85, v89, v85
	v_mul_f16_e32 v89, 0xbacd, v122
	v_add_f16_e64 v81, v81, v135
	s_delay_alu instid0(VALU_DEP_2) | instskip(NEXT) | instid1(VALU_DEP_2)
	v_fmamk_f16 v90, v106, 0xb836, v89
	v_add_f16_e64 v81, v81, v189
	v_fmac_f16_e32 v89, 0x3836, v106
	s_delay_alu instid0(VALU_DEP_3) | instskip(SKIP_1) | instid1(VALU_DEP_2)
	v_add_f16_e32 v85, v90, v85
	v_mul_f16_e32 v90, 0xbbf7, v105
	v_add_f16_e32 v85, v93, v85
	s_delay_alu instid0(VALU_DEP_2) | instskip(SKIP_1) | instid1(VALU_DEP_2)
	v_fmamk_f16 v91, v97, 0x2de8, v90
	v_mul_f16_e32 v93, 0xba62, v109
	v_add_f16_e64 v91, v91, v192
	s_delay_alu instid0(VALU_DEP_2) | instskip(SKIP_1) | instid1(VALU_DEP_2)
	v_fmamk_f16 v94, v99, 0xb8d2, v93
	v_fma_f16 v35, v99, 0xb8d2, -v93
	v_add_f16_e32 v91, v94, v91
	v_mul_f16_e64 v94, 0x3722, v140
	s_delay_alu instid0(VALU_DEP_1) | instskip(SKIP_1) | instid1(VALU_DEP_2)
	v_fmamk_f16 v96, v115, 0xbb29, v94
	v_fmac_f16_e32 v94, 0x3b29, v115
	v_add_f16_e32 v85, v96, v85
	v_mul_f16_e32 v96, 0xb1e1, v113
	s_delay_alu instid0(VALU_DEP_1) | instskip(SKIP_1) | instid1(VALU_DEP_2)
	v_fma_f16 v146, 0xbbdd, v101, v96
	v_fma_f16 v34, v101, 0xbbdd, -v96
	v_add_f16_e64 v91, v146, v91
	v_mul_f16_e64 v146, 0x3836, v121
	s_delay_alu instid0(VALU_DEP_1) | instskip(SKIP_1) | instid1(VALU_DEP_2)
	v_fma_f16 v152, 0xbacd, v104, v146
	v_fma_f16 v33, v104, 0xbacd, -v146
	v_add_f16_e64 v91, v152, v91
	v_mul_f16_e64 v152, 0x3bb2, v126
	;; [unrolled: 5-line block ×3, first 2 shown]
	s_delay_alu instid0(VALU_DEP_1) | instskip(NEXT) | instid1(VALU_DEP_1)
	v_fma_f16 v161, 0x3722, v112, v155
	v_add_f16_e64 v91, v161, v91
	v_mul_f16_e64 v161, 0x3b76, v144
	s_delay_alu instid0(VALU_DEP_1) | instskip(SKIP_1) | instid1(VALU_DEP_2)
	v_fma_f16 v164, 0xb5c8, v119, v161
	v_fmac_f16_e64 v161, 0x35c8, v119
	v_add_f16_e64 v85, v164, v85
	v_mul_f16_e64 v164, 0x35c8, v137
	s_delay_alu instid0(VALU_DEP_1) | instskip(NEXT) | instid1(VALU_DEP_1)
	v_fma_f16 v168, 0x3b76, v118, v164
	v_add_f16_e64 v91, v168, v91
	s_delay_alu instid0(VALU_DEP_1)
	v_pack_b32_f16 v52, v91, v85
	ds_store_2addr_b32 v46, v49, v48 offset1:1
	v_mul_f16_e32 v48, 0xbbb2, v95
	v_mul_f16_e32 v49, 0x3836, v98
	;; [unrolled: 1-line block ×3, first 2 shown]
	ds_store_2addr_b32 v46, v52, v51 offset0:2 offset1:3
	v_mul_f16_e32 v85, 0x39e9, v99
	v_sub_f16_e64 v48, v128, v48
	v_sub_f16_e64 v49, v139, v49
	v_sub_f16_e32 v91, v124, v91
	v_mul_f16_e32 v124, 0xb1e1, v98
	v_add_f16_e64 v85, v85, v143
	v_add_f16_e32 v48, v82, v48
	v_mul_f16_e64 v128, 0xba62, v119
	v_mul_f16_e32 v51, 0xbacd, v103
	v_sub_f16_e64 v124, v131, v124
	v_add_f16_e32 v81, v85, v81
	v_add_f16_e32 v48, v49, v48
	v_mul_f16_e32 v49, 0x3964, v100
	v_mul_f16_e32 v85, 0x3722, v101
	v_sub_f16_e64 v128, v180, v128
	v_fmamk_f16 v52, v95, 0x3836, v51
	v_mul_f16_e64 v131, 0xbbdd, v130
	v_sub_f16_e64 v49, v148, v49
	v_add_f16_e64 v85, v85, v151
	v_fmac_f16_e32 v51, 0xb836, v95
	v_add_f16_e32 v52, v82, v52
	s_delay_alu instid0(VALU_DEP_4) | instskip(SKIP_4) | instid1(VALU_DEP_4)
	v_add_f16_e32 v48, v49, v48
	v_mul_f16_e32 v49, 0xbb29, v102
	v_add_f16_e32 v81, v85, v81
	v_mul_f16_e32 v85, 0xbbdd, v104
	v_add_f16_e32 v51, v82, v51
	v_sub_f16_e64 v49, v156, v49
	s_delay_alu instid0(VALU_DEP_3) | instskip(NEXT) | instid1(VALU_DEP_2)
	v_add_f16_e64 v85, v85, v159
	v_add_f16_e32 v48, v49, v48
	v_mul_f16_e32 v49, 0xb1e1, v106
	s_delay_alu instid0(VALU_DEP_3) | instskip(SKIP_1) | instid1(VALU_DEP_3)
	v_add_f16_e32 v81, v85, v81
	v_mul_f16_e32 v85, 0x2de8, v108
	v_sub_f16_e64 v49, v165, v49
	s_delay_alu instid0(VALU_DEP_2) | instskip(NEXT) | instid1(VALU_DEP_2)
	v_add_f16_e64 v85, v85, v166
	v_add_f16_e32 v48, v49, v48
	v_mul_f16_e32 v49, 0x3bf7, v110
	s_delay_alu instid0(VALU_DEP_3) | instskip(SKIP_1) | instid1(VALU_DEP_3)
	v_add_f16_e32 v81, v85, v81
	v_mul_f16_e32 v85, 0x3b76, v112
	v_sub_f16_e64 v49, v171, v49
	s_delay_alu instid0(VALU_DEP_2) | instskip(NEXT) | instid1(VALU_DEP_2)
	v_add_f16_e64 v85, v85, v174
	v_add_f16_e32 v48, v49, v48
	v_mul_f16_e32 v49, 0xb5c8, v115
	s_delay_alu instid0(VALU_DEP_3) | instskip(NEXT) | instid1(VALU_DEP_2)
	v_add_f16_e32 v81, v85, v81
	v_sub_f16_e64 v49, v177, v49
	s_delay_alu instid0(VALU_DEP_1) | instskip(SKIP_2) | instid1(VALU_DEP_3)
	v_add_f16_e32 v48, v49, v48
	v_add_f16_e32 v49, v82, v91
	v_mul_f16_e32 v91, 0x3bb2, v100
	v_add_f16_e64 v48, v128, v48
	s_delay_alu instid0(VALU_DEP_3) | instskip(NEXT) | instid1(VALU_DEP_3)
	v_add_f16_e32 v49, v124, v49
	v_sub_f16_e64 v91, v138, v91
	v_mul_f16_e32 v124, 0xbbdd, v97
	s_delay_alu instid0(VALU_DEP_2) | instskip(SKIP_1) | instid1(VALU_DEP_3)
	v_add_f16_e32 v49, v91, v49
	v_mul_f16_e32 v91, 0x35c8, v102
	v_add_f16_e32 v124, v124, v125
	v_mul_f16_e32 v125, 0xb461, v99
	s_delay_alu instid0(VALU_DEP_3) | instskip(NEXT) | instid1(VALU_DEP_3)
	v_sub_f16_e64 v91, v145, v91
	v_add_f16_e64 v124, v124, v190
	s_delay_alu instid0(VALU_DEP_3)
	v_add_f16_e64 v125, v125, v133
	v_fma_f16 v133, 0x31e1, v110, v131
	v_fmac_f16_e64 v131, 0xb1e1, v110
	v_add_f16_e32 v49, v91, v49
	v_mul_f16_e32 v91, 0xbb29, v106
	v_add_f16_e32 v124, v125, v124
	v_mul_f16_e32 v125, 0x3b76, v101
	s_delay_alu instid0(VALU_DEP_3) | instskip(NEXT) | instid1(VALU_DEP_2)
	v_sub_f16_e64 v91, v154, v91
	v_add_f16_e64 v125, v125, v142
	s_delay_alu instid0(VALU_DEP_2) | instskip(SKIP_1) | instid1(VALU_DEP_3)
	v_add_f16_e32 v49, v91, v49
	v_mul_f16_e32 v91, 0xb836, v110
	v_add_f16_e32 v85, v125, v124
	v_mul_f16_e32 v124, 0x3a62, v115
	v_mul_f16_e32 v125, 0xb8d2, v118
	s_delay_alu instid0(VALU_DEP_4) | instskip(NEXT) | instid1(VALU_DEP_3)
	v_sub_f16_e64 v91, v163, v91
	v_sub_f16_e64 v124, v169, v124
	s_delay_alu instid0(VALU_DEP_3) | instskip(NEXT) | instid1(VALU_DEP_3)
	v_add_f16_e64 v125, v125, v178
	v_add_f16_e32 v49, v91, v49
	v_mul_f16_e32 v91, 0x3722, v104
	s_delay_alu instid0(VALU_DEP_3) | instskip(NEXT) | instid1(VALU_DEP_3)
	v_add_f16_e32 v81, v125, v81
	v_add_f16_e32 v49, v124, v49
	s_delay_alu instid0(VALU_DEP_3) | instskip(SKIP_1) | instid1(VALU_DEP_4)
	v_add_f16_e64 v91, v91, v149
	v_mul_f16_e32 v124, 0x3964, v119
	v_pack_b32_f16 v48, v81, v48
	v_mul_f16_e32 v81, 0x3722, v107
	s_delay_alu instid0(VALU_DEP_4) | instskip(SKIP_2) | instid1(VALU_DEP_2)
	v_add_f16_e32 v85, v91, v85
	v_mul_f16_e32 v91, 0xbacd, v108
	v_sub_f16_e64 v124, v176, v124
	v_add_f16_e64 v91, v91, v158
	s_delay_alu instid0(VALU_DEP_2) | instskip(NEXT) | instid1(VALU_DEP_2)
	v_add_f16_e32 v49, v124, v49
	v_add_f16_e32 v85, v91, v85
	v_mul_f16_e32 v91, 0xb8d2, v112
	s_delay_alu instid0(VALU_DEP_1) | instskip(NEXT) | instid1(VALU_DEP_1)
	v_add_f16_e64 v91, v91, v167
	v_add_f16_e32 v85, v91, v85
	v_mul_f16_e32 v91, 0x39e9, v118
	s_delay_alu instid0(VALU_DEP_1) | instskip(NEXT) | instid1(VALU_DEP_1)
	v_add_f16_e64 v91, v91, v173
	v_add_f16_e32 v85, v91, v85
	s_delay_alu instid0(VALU_DEP_1) | instskip(SKIP_2) | instid1(VALU_DEP_2)
	v_pack_b32_f16 v49, v85, v49
	v_fmamk_f16 v85, v98, 0xbb29, v81
	v_fmac_f16_e32 v81, 0x3b29, v98
	v_add_f16_e32 v52, v85, v52
	v_mul_f16_e32 v85, 0x2de8, v111
	s_delay_alu instid0(VALU_DEP_3) | instskip(NEXT) | instid1(VALU_DEP_2)
	v_add_f16_e32 v51, v81, v51
	v_fmamk_f16 v91, v100, 0x3bf7, v85
	v_fmac_f16_e32 v85, 0xbbf7, v100
	s_delay_alu instid0(VALU_DEP_2) | instskip(SKIP_1) | instid1(VALU_DEP_3)
	v_add_f16_e32 v52, v91, v52
	v_mul_f16_e32 v91, 0xb8d2, v117
	v_add_f16_e32 v51, v85, v51
	s_delay_alu instid0(VALU_DEP_2) | instskip(SKIP_1) | instid1(VALU_DEP_2)
	v_fmamk_f16 v124, v102, 0xba62, v91
	v_fmac_f16_e32 v91, 0x3a62, v102
	v_add_f16_e32 v52, v124, v52
	v_mul_f16_e32 v124, 0x3b76, v122
	s_delay_alu instid0(VALU_DEP_3) | instskip(NEXT) | instid1(VALU_DEP_2)
	v_add_f16_e32 v51, v91, v51
	v_fmamk_f16 v125, v106, 0x35c8, v124
	v_fmac_f16_e32 v124, 0xb5c8, v106
	s_delay_alu instid0(VALU_DEP_2) | instskip(SKIP_2) | instid1(VALU_DEP_4)
	v_add_f16_e32 v52, v125, v52
	v_mul_f16_e32 v125, 0x3b29, v105
	v_mul_f16_e32 v105, 0x35c8, v105
	v_add_f16_e32 v51, v124, v51
	s_delay_alu instid0(VALU_DEP_4) | instskip(NEXT) | instid1(VALU_DEP_4)
	v_add_f16_e64 v52, v133, v52
	v_fma_f16 v128, 0x3722, v97, v125
	v_mul_f16_e64 v133, 0xbbf7, v109
	v_mul_f16_e32 v109, 0xb836, v109
	v_fma_f16 v81, v97, 0x3722, -v125
	v_add_f16_e64 v51, v131, v51
	v_add_f16_e64 v128, v128, v187
	v_fma_f16 v135, 0x2de8, v99, v133
	v_fma_f16 v85, v99, 0x2de8, -v133
	v_add_f16_e64 v81, v81, v194
	s_delay_alu instid0(VALU_DEP_3) | instskip(SKIP_1) | instid1(VALU_DEP_3)
	v_add_f16_e64 v128, v135, v128
	v_mul_f16_e64 v135, 0xba62, v95
	v_add_f16_e32 v81, v85, v81
	s_delay_alu instid0(VALU_DEP_2) | instskip(SKIP_1) | instid1(VALU_DEP_2)
	v_sub_f16_e64 v114, v114, v135
	v_mul_f16_e64 v135, 0x3bb2, v98
	v_add_f16_e32 v114, v82, v114
	s_delay_alu instid0(VALU_DEP_2) | instskip(NEXT) | instid1(VALU_DEP_1)
	v_sub_f16_e64 v120, v120, v135
	v_add_f16_e32 v114, v120, v114
	v_mul_f16_e32 v120, 0xb5c8, v100
	s_delay_alu instid0(VALU_DEP_1) | instskip(SKIP_2) | instid1(VALU_DEP_3)
	v_sub_f16_e32 v120, v127, v120
	v_mul_f16_e32 v127, 0x3a62, v113
	v_mul_f16_e32 v113, 0x3964, v113
	v_add_f16_e32 v114, v120, v114
	v_mul_f16_e32 v120, 0xb836, v102
	s_delay_alu instid0(VALU_DEP_4) | instskip(SKIP_1) | instid1(VALU_DEP_3)
	v_fma_f16 v135, 0xb8d2, v101, v127
	v_fma_f16 v85, v101, 0xb8d2, -v127
	v_sub_f16_e64 v120, v134, v120
	v_mul_f16_e64 v134, 0x39e9, v140
	s_delay_alu instid0(VALU_DEP_4) | instskip(NEXT) | instid1(VALU_DEP_4)
	v_add_f16_e64 v128, v135, v128
	v_add_f16_e32 v81, v85, v81
	s_delay_alu instid0(VALU_DEP_4) | instskip(NEXT) | instid1(VALU_DEP_4)
	v_add_f16_e32 v114, v120, v114
	v_fma_f16 v135, 0xb964, v115, v134
	v_mul_f16_e32 v120, 0x3bf7, v106
	v_fmac_f16_e64 v134, 0x3964, v115
	s_delay_alu instid0(VALU_DEP_3) | instskip(NEXT) | instid1(VALU_DEP_3)
	v_add_f16_e64 v52, v135, v52
	v_sub_f16_e64 v120, v141, v120
	v_mul_f16_e64 v135, 0xb461, v97
	s_delay_alu instid0(VALU_DEP_4) | instskip(NEXT) | instid1(VALU_DEP_3)
	v_add_f16_e64 v51, v134, v51
	v_add_f16_e32 v114, v120, v114
	s_delay_alu instid0(VALU_DEP_3) | instskip(SKIP_3) | instid1(VALU_DEP_4)
	v_add_f16_e64 v116, v135, v116
	v_mul_f16_e32 v120, 0x3b76, v99
	v_mul_f16_e64 v135, 0xb5c8, v121
	v_mul_f16_e32 v121, 0xba62, v121
	v_add_f16_e64 v116, v116, v188
	s_delay_alu instid0(VALU_DEP_4) | instskip(SKIP_3) | instid1(VALU_DEP_4)
	v_add_f16_e32 v120, v120, v123
	v_mul_f16_e32 v123, 0xb964, v110
	v_fma_f16 v138, 0x3b76, v104, v135
	v_fma_f16 v85, v104, 0x3b76, -v135
	v_add_f16_e32 v116, v120, v116
	v_mul_f16_e32 v120, 0xbacd, v101
	v_sub_f16_e64 v123, v150, v123
	v_add_f16_e64 v128, v138, v128
	v_add_f16_e32 v81, v85, v81
	s_delay_alu instid0(VALU_DEP_4) | instskip(SKIP_3) | instid1(VALU_DEP_4)
	v_add_f16_e64 v120, v120, v129
	v_mul_f16_e64 v129, 0xb1e1, v126
	v_add_f16_e32 v114, v123, v114
	v_mul_f16_e32 v123, 0xb1e1, v115
	v_add_f16_e32 v116, v120, v116
	v_mul_f16_e32 v120, 0x2de8, v104
	v_fma_f16 v138, 0xbbdd, v108, v129
	s_delay_alu instid0(VALU_DEP_4) | instskip(SKIP_1) | instid1(VALU_DEP_4)
	v_sub_f16_e64 v123, v157, v123
	v_fma_f16 v85, v108, 0xbbdd, -v129
	v_add_f16_e64 v120, v120, v136
	v_mul_f16_e64 v136, 0xb461, v144
	v_add_f16_e64 v128, v138, v128
	v_add_f16_e32 v114, v123, v114
	v_mul_f16_e32 v123, 0x3b29, v119
	v_add_f16_e32 v116, v120, v116
	v_mul_f16_e32 v120, 0x39e9, v108
	v_fma_f16 v138, 0x3bb2, v119, v136
	v_add_f16_e32 v81, v85, v81
	v_sub_f16_e64 v123, v162, v123
	v_fmac_f16_e64 v136, 0xbbb2, v119
	v_add_f16_e64 v120, v120, v147
	v_add_f16_e64 v52, v138, v52
	v_mul_f16_e64 v138, 0x3964, v132
	v_add_f16_e32 v114, v123, v114
	v_add_f16_e64 v51, v136, v51
	v_add_f16_e32 v116, v120, v116
	v_mul_f16_e32 v120, 0xbbdd, v112
	v_fma_f16 v139, 0x39e9, v112, v138
	v_fma_f16 v85, v112, 0x39e9, -v138
	s_delay_alu instid0(VALU_DEP_3) | instskip(NEXT) | instid1(VALU_DEP_3)
	v_add_f16_e64 v120, v120, v153
	v_add_f16_e64 v128, v139, v128
	s_delay_alu instid0(VALU_DEP_3) | instskip(NEXT) | instid1(VALU_DEP_3)
	v_add_f16_e32 v81, v85, v81
	v_add_f16_e32 v116, v120, v116
	v_mul_f16_e32 v120, 0x3722, v118
	s_delay_alu instid0(VALU_DEP_1) | instskip(NEXT) | instid1(VALU_DEP_1)
	v_add_f16_e64 v120, v120, v160
	v_add_f16_e32 v116, v120, v116
	v_mul_f16_e64 v120, 0xbbb2, v137
	s_delay_alu instid0(VALU_DEP_2) | instskip(NEXT) | instid1(VALU_DEP_2)
	v_pack_b32_f16 v114, v116, v114
	v_fmamk_f16 v123, v118, 0xb461, v120
	v_mul_f16_e64 v116, 0x3722, v130
	v_fma_f16 v85, v118, 0xb461, -v120
	s_delay_alu instid0(VALU_DEP_3) | instskip(NEXT) | instid1(VALU_DEP_2)
	v_add_f16_e64 v123, v123, v128
	v_add_f16_e32 v81, v85, v81
	s_delay_alu instid0(VALU_DEP_2)
	v_pack_b32_f16 v52, v123, v52
	ds_store_2addr_b32 v46, v49, v48 offset0:4 offset1:5
	ds_store_2addr_b32 v46, v114, v52 offset0:6 offset1:7
	v_mul_f16_e32 v48, 0xbbdd, v103
	v_mul_f16_e32 v49, 0x3b76, v107
	v_pack_b32_f16 v51, v81, v51
	v_fma_f16 v81, v97, 0x2de8, -v90
	s_delay_alu instid0(VALU_DEP_4) | instskip(NEXT) | instid1(VALU_DEP_4)
	v_fmamk_f16 v52, v95, 0x31e1, v48
	v_fmamk_f16 v103, v98, 0xb5c8, v49
	v_fmac_f16_e32 v48, 0xb1e1, v95
	v_fmac_f16_e32 v49, 0x35c8, v98
	v_add_f16_e32 v25, v81, v25
	v_add_f16_e32 v52, v82, v52
	s_delay_alu instid0(VALU_DEP_4) | instskip(NEXT) | instid1(VALU_DEP_3)
	v_add_f16_e32 v48, v82, v48
	v_add_f16_e32 v25, v35, v25
	s_delay_alu instid0(VALU_DEP_3) | instskip(SKIP_1) | instid1(VALU_DEP_4)
	v_add_f16_e32 v52, v103, v52
	v_mul_f16_e32 v103, 0xbacd, v111
	v_add_f16_e32 v48, v49, v48
	v_fma_f16 v49, v97, 0x3b76, -v105
	v_fma_f16 v35, v101, 0x2de8, -v39
	v_add_f16_e32 v25, v34, v25
	v_fmamk_f16 v107, v100, 0x3836, v103
	v_fmac_f16_e32 v103, 0xb836, v100
	v_add_f16_e64 v49, v49, v193
	v_add_f16_e32 v30, v35, v30
	v_fma_f16 v34, v104, 0xb461, -v37
	v_add_f16_e32 v52, v107, v52
	v_mul_f16_e32 v107, 0x39e9, v117
	v_fmamk_f16 v117, v110, 0xbb29, v116
	v_add_f16_e32 v48, v103, v48
	v_fma_f16 v103, v99, 0xbacd, -v109
	v_fmac_f16_e32 v116, 0x3b29, v110
	v_fmamk_f16 v111, v102, 0xb964, v107
	v_fmac_f16_e32 v107, 0x3964, v102
	v_add_f16_e32 v25, v33, v25
	v_add_f16_e32 v49, v103, v49
	v_fma_f16 v103, v101, 0x39e9, -v113
	v_add_f16_e32 v52, v111, v52
	v_mul_f16_e32 v111, 0xb8d2, v122
	v_add_f16_e32 v48, v107, v48
	v_add_f16_e32 v30, v34, v30
	;; [unrolled: 1-line block ×3, first 2 shown]
	v_fma_f16 v103, v104, 0xb8d2, -v121
	v_fmamk_f16 v114, v106, 0x3a62, v111
	v_fmac_f16_e32 v111, 0xba62, v106
	v_fma_f16 v33, v108, 0xb8d2, -v38
	v_add_f16_e32 v25, v31, v25
	v_add_f16_e32 v49, v103, v49
	;; [unrolled: 1-line block ×3, first 2 shown]
	v_fmamk_f16 v114, v97, 0x3b76, v105
	v_add_f16_e32 v48, v111, v48
	v_add_f16_e32 v29, v33, v30
	v_fma_f16 v30, v112, 0x3722, -v155
	v_add_f16_e32 v52, v117, v52
	v_add_f16_e64 v114, v114, v172
	v_fmamk_f16 v117, v99, 0xbacd, v109
	v_add_f16_e32 v48, v116, v48
	v_fma_f16 v31, v112, 0xbacd, -v36
	v_add_f16_e32 v25, v30, v25
	v_fma_f16 v30, v118, 0xbbdd, -v86
	v_add_f16_e32 v114, v117, v114
	v_mul_f16_e64 v117, 0xb461, v140
	v_add_f16_e32 v24, v31, v29
	v_fma_f16 v29, v118, 0x3b76, -v164
	s_delay_alu instid0(VALU_DEP_3) | instskip(SKIP_1) | instid1(VALU_DEP_3)
	v_fmamk_f16 v122, v115, 0x3bb2, v117
	v_fmac_f16_e32 v117, 0xbbb2, v115
	v_add_f16_e32 v25, v29, v25
	v_add_f16_e32 v24, v30, v24
	v_perm_b32 v29, v78, v26, 0x5040100
	v_add_f16_e32 v52, v122, v52
	v_fmamk_f16 v122, v101, 0x39e9, v113
	v_add_f16_e32 v48, v117, v48
	v_perm_b32 v30, v79, v28, 0x5040100
	v_pack_b32_f16 v23, v24, v23
	s_delay_alu instid0(VALU_DEP_4) | instskip(SKIP_1) | instid1(VALU_DEP_1)
	v_add_f16_e32 v114, v122, v114
	v_fmamk_f16 v122, v104, 0xb8d2, v121
	v_add_f16_e32 v114, v122, v114
	v_mul_f16_e32 v122, 0x3b29, v126
	s_delay_alu instid0(VALU_DEP_1) | instskip(SKIP_1) | instid1(VALU_DEP_2)
	v_fmamk_f16 v123, v108, 0x3722, v122
	v_fma_f16 v103, v108, 0x3722, -v122
	v_add_f16_e32 v114, v123, v114
	v_mul_f16_e64 v123, 0x2de8, v144
	s_delay_alu instid0(VALU_DEP_3) | instskip(NEXT) | instid1(VALU_DEP_2)
	v_add_f16_e32 v49, v103, v49
	v_fmamk_f16 v126, v119, 0xbbf7, v123
	v_fmac_f16_e32 v123, 0x3bf7, v119
	s_delay_alu instid0(VALU_DEP_2) | instskip(SKIP_1) | instid1(VALU_DEP_3)
	v_add_f16_e32 v52, v126, v52
	v_mul_f16_e64 v126, 0xbbb2, v132
	v_add_f16_e32 v48, v123, v48
	s_delay_alu instid0(VALU_DEP_2) | instskip(SKIP_1) | instid1(VALU_DEP_2)
	v_fma_f16 v103, v112, 0xb461, -v126
	v_fma_f16 v128, 0xb461, v112, v126
	v_add_f16_e32 v49, v103, v49
	v_mul_f16_e64 v103, 0x3bf7, v137
	s_delay_alu instid0(VALU_DEP_3) | instskip(NEXT) | instid1(VALU_DEP_2)
	v_add_f16_e64 v114, v128, v114
	v_fma_f16 v105, v118, 0x2de8, -v103
	v_fmamk_f16 v103, v118, 0x2de8, v103
	s_delay_alu instid0(VALU_DEP_2) | instskip(NEXT) | instid1(VALU_DEP_2)
	v_add_f16_e32 v49, v105, v49
	v_add_f16_e32 v103, v103, v114
	s_delay_alu instid0(VALU_DEP_2) | instskip(NEXT) | instid1(VALU_DEP_2)
	v_pack_b32_f16 v48, v49, v48
	v_pack_b32_f16 v49, v103, v52
	v_add_f16_e32 v52, v82, v84
	s_delay_alu instid0(VALU_DEP_1) | instskip(NEXT) | instid1(VALU_DEP_1)
	v_add_f16_e32 v52, v87, v52
	v_add_f16_e32 v52, v88, v52
	s_delay_alu instid0(VALU_DEP_1) | instskip(NEXT) | instid1(VALU_DEP_1)
	v_add_f16_e32 v42, v83, v52
	;; [unrolled: 3-line block ×3, first 2 shown]
	v_add_f16_e32 v34, v94, v35
	s_delay_alu instid0(VALU_DEP_1) | instskip(NEXT) | instid1(VALU_DEP_1)
	v_add_f16_e64 v31, v161, v34
	v_pack_b32_f16 v25, v25, v31
	v_perm_b32 v31, v77, v40, 0x5040100
	ds_store_2addr_b32 v46, v49, v48 offset0:8 offset1:9
	ds_store_2addr_b32 v46, v51, v29 offset0:10 offset1:11
	;; [unrolled: 1-line block ×4, first 2 shown]
	ds_store_b32 v46, v23 offset:64
.LBB0_17:
	s_wait_alu 0xfffe
	s_or_b32 exec_lo, exec_lo, s1
	global_wb scope:SCOPE_SE
	s_wait_dscnt 0x0
	s_barrier_signal -1
	s_barrier_wait -1
	global_inv scope:SCOPE_SE
	ds_load_2addr_b32 v[29:30], v47 offset1:85
	ds_load_2addr_b32 v[31:32], v47 offset0:170 offset1:255
	v_add_nc_u32_e32 v24, 0x400, v47
	ds_load_b32 v39, v47 offset:3400
	ds_load_2addr_b32 v[33:34], v24 offset0:84 offset1:169
	v_add_nc_u32_e32 v25, 0x600, v47
	v_add_nc_u32_e32 v23, 0x800, v47
	ds_load_2addr_b32 v[35:36], v25 offset0:126 offset1:211
	ds_load_2addr_b32 v[37:38], v23 offset0:168 offset1:253
	global_wb scope:SCOPE_SE
	s_wait_dscnt 0x0
	s_barrier_signal -1
	s_barrier_wait -1
	global_inv scope:SCOPE_SE
	v_lshrrev_b32_e32 v41, 16, v30
	v_lshrrev_b32_e32 v42, 16, v31
	;; [unrolled: 1-line block ×3, first 2 shown]
	v_mul_f16_e32 v49, v66, v30
	v_mul_f16_e32 v51, v67, v31
	;; [unrolled: 1-line block ×3, first 2 shown]
	v_lshrrev_b32_e32 v52, 16, v33
	v_lshrrev_b32_e32 v81, 16, v34
	v_mul_f16_e32 v67, v67, v42
	v_fma_f16 v41, v8, v41, -v49
	v_fmac_f16_e32 v66, v8, v30
	v_mul_f16_e32 v8, v65, v46
	v_mul_f16_e32 v30, v65, v32
	v_lshrrev_b32_e32 v25, 16, v29
	v_lshrrev_b32_e32 v82, 16, v35
	v_fmac_f16_e32 v67, v9, v31
	v_fma_f16 v9, v9, v42, -v51
	v_mul_f16_e32 v31, v64, v52
	v_mul_f16_e32 v42, v64, v33
	v_fmac_f16_e32 v8, v10, v32
	v_fma_f16 v10, v10, v46, -v30
	v_mul_f16_e32 v30, v63, v81
	v_fmac_f16_e32 v31, v11, v33
	v_fma_f16 v11, v11, v52, -v42
	v_mul_f16_e32 v32, v63, v34
	v_mul_f16_e32 v33, v62, v82
	v_fmac_f16_e32 v30, v4, v34
	v_add_f16_e32 v34, v29, v66
	v_add_f16_e32 v42, v25, v41
	v_fma_f16 v4, v4, v81, -v32
	v_fmac_f16_e32 v33, v5, v35
	v_mul_f16_e32 v32, v62, v35
	v_add_f16_e32 v34, v34, v67
	v_add_f16_e32 v35, v42, v9
	v_lshrrev_b32_e32 v83, 16, v36
	v_lshrrev_b32_e32 v84, 16, v37
	v_fma_f16 v5, v5, v82, -v32
	v_add_f16_e32 v32, v34, v8
	v_add_f16_e32 v34, v35, v10
	v_lshrrev_b32_e32 v85, 16, v38
	v_mul_f16_e32 v42, v61, v83
	v_mul_f16_e32 v46, v61, v36
	v_mul_f16_e32 v35, v60, v84
	v_add_f16_e32 v34, v34, v11
	v_add_f16_e32 v32, v32, v31
	v_fmac_f16_e32 v42, v6, v36
	v_fma_f16 v6, v6, v83, -v46
	v_mul_f16_e32 v36, v60, v37
	v_add_f16_e32 v34, v34, v4
	v_mul_f16_e32 v46, v58, v85
	v_lshrrev_b32_e32 v48, 16, v39
	v_fmac_f16_e32 v35, v7, v37
	v_add_f16_e32 v32, v32, v30
	v_add_f16_e32 v34, v34, v5
	v_fma_f16 v7, v7, v84, -v36
	v_fmac_f16_e32 v46, v21, v38
	v_mul_f16_e32 v36, v59, v39
	v_mul_f16_e32 v38, v58, v38
	v_add_f16_e32 v34, v34, v6
	v_add_f16_e32 v32, v32, v33
	v_mul_f16_e32 v37, v59, v48
	v_fma_f16 v36, v22, v48, -v36
	v_fma_f16 v21, v21, v85, -v38
	v_add_f16_e32 v34, v34, v7
	v_add_f16_e32 v32, v32, v42
	v_fmac_f16_e32 v37, v22, v39
	v_sub_f16_e32 v22, v41, v36
	v_add_f16_e32 v39, v41, v36
	v_add_f16_e32 v34, v34, v21
	;; [unrolled: 1-line block ×4, first 2 shown]
	v_mul_f16_e32 v41, 0xb853, v22
	v_sub_f16_e32 v48, v66, v37
	v_mul_f16_e32 v49, 0x3abb, v39
	v_add_f16_e32 v34, v34, v36
	v_mul_f16_e32 v36, 0xbb47, v22
	v_mul_f16_e32 v58, 0x36a6, v39
	;; [unrolled: 1-line block ×8, first 2 shown]
	v_sub_f16_e32 v83, v9, v21
	v_add_f16_e32 v32, v32, v46
	v_fmamk_f16 v51, v38, 0x3abb, v41
	v_fma_f16 v41, v38, 0x3abb, -v41
	v_fmamk_f16 v52, v38, 0x36a6, v36
	v_fma_f16 v36, v38, 0x36a6, -v36
	;; [unrolled: 2-line block ×4, first 2 shown]
	v_fmamk_f16 v82, v38, 0xbbad, v22
	v_fmamk_f16 v84, v48, 0x3482, v39
	v_fma_f16 v22, v38, 0xbbad, -v22
	v_add_f16_e32 v9, v9, v21
	v_add_f16_e32 v21, v67, v46
	v_mul_f16_e32 v38, 0xbb47, v83
	v_add_f16_e32 v32, v32, v37
	v_fmamk_f16 v37, v48, 0x3853, v49
	v_add_f16_e32 v51, v29, v51
	v_fmac_f16_e32 v49, 0xb853, v48
	v_fmamk_f16 v60, v48, 0x3b47, v58
	v_fmac_f16_e32 v58, 0xbb47, v48
	v_fmamk_f16 v63, v48, 0x3beb, v61
	;; [unrolled: 2-line block ×3, first 2 shown]
	v_fmac_f16_e32 v65, 0xba0c, v48
	v_fmac_f16_e32 v39, 0xb482, v48
	v_sub_f16_e32 v46, v67, v46
	v_mul_f16_e32 v48, 0x36a6, v9
	v_add_f16_e32 v67, v25, v84
	v_fmamk_f16 v84, v21, 0x36a6, v38
	v_add_f16_e32 v37, v25, v37
	v_add_f16_e32 v41, v29, v41
	;; [unrolled: 1-line block ×18, first 2 shown]
	v_fmamk_f16 v29, v46, 0x3b47, v48
	v_mul_f16_e32 v39, 0xba0c, v83
	v_add_f16_e32 v51, v84, v51
	v_fma_f16 v38, v21, 0x36a6, -v38
	v_fmac_f16_e32 v48, 0xbb47, v46
	v_mul_f16_e32 v84, 0xb93d, v9
	v_add_f16_e32 v29, v29, v37
	v_fmamk_f16 v37, v21, 0xb93d, v39
	v_add_f16_e32 v38, v38, v41
	v_add_f16_e32 v41, v48, v49
	v_mul_f16_e32 v48, 0x3482, v83
	v_fmamk_f16 v49, v46, 0x3a0c, v84
	v_fma_f16 v39, v21, 0xb93d, -v39
	v_fmac_f16_e32 v84, 0xba0c, v46
	v_mul_f16_e32 v85, 0xbbad, v9
	v_add_f16_e32 v37, v37, v52
	v_fmamk_f16 v52, v21, 0xbbad, v48
	v_add_f16_e32 v49, v49, v60
	v_add_f16_e32 v36, v39, v36
	;; [unrolled: 1-line block ×3, first 2 shown]
	v_fmamk_f16 v58, v46, 0xb482, v85
	v_mul_f16_e32 v60, 0x3beb, v83
	v_add_f16_e32 v52, v52, v62
	v_fma_f16 v48, v21, 0xbbad, -v48
	v_mul_f16_e32 v62, 0xb08e, v9
	v_add_f16_e32 v58, v58, v63
	v_fmamk_f16 v63, v21, 0xb08e, v60
	v_mul_f16_e32 v83, 0x3853, v83
	v_fma_f16 v60, v21, 0xb08e, -v60
	v_add_f16_e32 v48, v48, v59
	v_fmamk_f16 v59, v46, 0xbbeb, v62
	v_add_f16_e32 v63, v63, v66
	v_fmac_f16_e32 v62, 0x3beb, v46
	v_fmamk_f16 v66, v21, 0x3abb, v83
	v_add_f16_e32 v60, v60, v64
	v_sub_f16_e32 v64, v10, v7
	v_add_f16_e32 v59, v59, v81
	v_mul_f16_e32 v9, 0x3abb, v9
	v_add_f16_e32 v62, v62, v65
	v_add_f16_e32 v65, v66, v82
	;; [unrolled: 1-line block ×3, first 2 shown]
	v_mul_f16_e32 v82, 0xbbeb, v64
	v_add_f16_e32 v7, v10, v7
	v_fmamk_f16 v66, v46, 0xb853, v9
	v_fma_f16 v10, v21, 0x3abb, -v83
	v_fmac_f16_e32 v9, 0x3853, v46
	v_sub_f16_e32 v8, v8, v35
	v_fmamk_f16 v21, v81, 0xb08e, v82
	v_mul_f16_e32 v35, 0xb08e, v7
	v_fmac_f16_e32 v85, 0x3482, v46
	v_add_f16_e32 v46, v66, v67
	v_add_f16_e32 v10, v10, v22
	;; [unrolled: 1-line block ×4, first 2 shown]
	v_fmamk_f16 v22, v8, 0x3beb, v35
	v_mul_f16_e32 v25, 0x3482, v64
	v_fma_f16 v51, v81, 0xb08e, -v82
	v_fmac_f16_e32 v35, 0xbbeb, v8
	v_mul_f16_e32 v66, 0xbbad, v7
	v_add_f16_e32 v22, v22, v29
	v_fmamk_f16 v29, v81, 0xbbad, v25
	v_add_f16_e32 v38, v51, v38
	v_add_f16_e32 v35, v35, v41
	v_fmamk_f16 v41, v8, 0xb482, v66
	v_mul_f16_e32 v51, 0x3b47, v64
	v_add_f16_e32 v29, v29, v37
	v_fma_f16 v25, v81, 0xbbad, -v25
	v_fmac_f16_e32 v66, 0x3482, v8
	v_add_f16_e32 v37, v41, v49
	v_fmamk_f16 v41, v81, 0x36a6, v51
	v_mul_f16_e32 v49, 0x36a6, v7
	v_add_f16_e32 v25, v25, v36
	v_add_f16_e32 v36, v66, v39
	v_mul_f16_e32 v39, 0xb853, v64
	v_add_f16_e32 v41, v41, v52
	v_fmamk_f16 v52, v8, 0xbb47, v49
	v_mul_f16_e32 v67, 0x3abb, v7
	v_fma_f16 v51, v81, 0x36a6, -v51
	v_fmamk_f16 v66, v81, 0x3abb, v39
	v_mul_f16_e32 v7, 0xb93d, v7
	v_add_f16_e32 v52, v52, v58
	v_fmamk_f16 v58, v8, 0x3853, v67
	v_fma_f16 v39, v81, 0x3abb, -v39
	v_fmac_f16_e32 v67, 0xb853, v8
	v_add_f16_e32 v61, v85, v61
	v_fmac_f16_e32 v49, 0x3b47, v8
	v_add_f16_e32 v48, v51, v48
	v_add_f16_e32 v51, v66, v63
	v_fmamk_f16 v63, v8, 0x3a0c, v7
	v_add_f16_e32 v39, v39, v60
	v_add_f16_e32 v60, v67, v62
	v_sub_f16_e32 v62, v11, v6
	v_add_f16_e32 v49, v49, v61
	v_mul_f16_e32 v61, 0xba0c, v64
	v_add_f16_e32 v46, v63, v46
	v_add_f16_e32 v63, v31, v42
	v_add_f16_e32 v6, v11, v6
	v_mul_f16_e32 v11, 0xba0c, v62
	v_fmac_f16_e32 v7, 0xba0c, v8
	v_add_f16_e32 v58, v58, v59
	v_fmamk_f16 v59, v81, 0xb93d, v61
	v_fma_f16 v61, v81, 0xb93d, -v61
	v_sub_f16_e32 v8, v31, v42
	v_mul_f16_e32 v31, 0xb93d, v6
	v_fmamk_f16 v42, v63, 0xb93d, v11
	v_add_f16_e32 v7, v7, v9
	v_mul_f16_e32 v9, 0x3beb, v62
	v_add_f16_e32 v10, v61, v10
	v_fmamk_f16 v61, v8, 0x3a0c, v31
	v_add_f16_e32 v21, v42, v21
	v_fmac_f16_e32 v31, 0xba0c, v8
	v_fmamk_f16 v42, v63, 0xb08e, v9
	v_fma_f16 v11, v63, 0xb93d, -v11
	v_add_f16_e32 v22, v61, v22
	v_mul_f16_e32 v61, 0xb08e, v6
	v_add_f16_e32 v31, v31, v35
	v_add_f16_e32 v35, v42, v29
	v_mul_f16_e32 v29, 0xb853, v62
	v_add_f16_e32 v11, v11, v38
	v_fmamk_f16 v38, v8, 0xbbeb, v61
	v_fma_f16 v9, v63, 0xb08e, -v9
	v_mul_f16_e32 v42, 0x3abb, v6
	v_fmamk_f16 v64, v63, 0x3abb, v29
	v_fmac_f16_e32 v61, 0x3beb, v8
	v_add_f16_e32 v37, v38, v37
	v_add_f16_e32 v9, v9, v25
	v_fmamk_f16 v25, v8, 0x3853, v42
	v_add_f16_e32 v38, v64, v41
	v_mul_f16_e32 v41, 0xb482, v62
	v_fma_f16 v29, v63, 0x3abb, -v29
	v_add_f16_e32 v36, v61, v36
	v_fmac_f16_e32 v42, 0xb853, v8
	v_add_f16_e32 v52, v25, v52
	v_mul_f16_e32 v25, 0xbbad, v6
	v_fmamk_f16 v61, v63, 0xbbad, v41
	v_add_f16_e32 v48, v29, v48
	v_mul_f16_e32 v29, 0x3b47, v62
	v_add_f16_e32 v59, v59, v65
	v_add_f16_e32 v42, v42, v49
	v_fmamk_f16 v49, v8, 0x3482, v25
	v_add_f16_e32 v51, v61, v51
	v_fmamk_f16 v61, v63, 0x36a6, v29
	v_fma_f16 v41, v63, 0xbbad, -v41
	v_fmac_f16_e32 v25, 0xb482, v8
	v_add_f16_e32 v49, v49, v58
	v_mul_f16_e32 v6, 0x36a6, v6
	v_add_f16_e32 v58, v61, v59
	v_sub_f16_e32 v59, v4, v5
	v_add_f16_e32 v39, v41, v39
	v_add_f16_e32 v41, v25, v60
	v_fmamk_f16 v25, v8, 0xbb47, v6
	v_add_f16_e32 v4, v4, v5
	v_add_f16_e32 v5, v30, v33
	v_mul_f16_e32 v60, 0xb482, v59
	v_fmac_f16_e32 v6, 0x3b47, v8
	v_sub_f16_e32 v8, v30, v33
	v_mul_f16_e32 v30, 0xbbad, v4
	v_add_f16_e32 v33, v25, v46
	v_fmamk_f16 v25, v5, 0xbbad, v60
	v_add_f16_e32 v6, v6, v7
	v_mul_f16_e32 v46, 0x3853, v59
	v_fmamk_f16 v7, v8, 0x3482, v30
	v_fma_f16 v29, v63, 0x36a6, -v29
	v_add_f16_e32 v21, v25, v21
	v_fma_f16 v25, v5, 0xbbad, -v60
	v_fmac_f16_e32 v30, 0xb482, v8
	v_mul_f16_e32 v60, 0x3abb, v4
	v_add_f16_e32 v7, v7, v22
	v_fmamk_f16 v22, v5, 0x3abb, v46
	v_add_f16_e32 v25, v25, v11
	v_mul_f16_e32 v11, 0xba0c, v59
	v_add_f16_e32 v10, v29, v10
	v_add_f16_e32 v29, v30, v31
	v_fmamk_f16 v30, v8, 0xb853, v60
	v_fma_f16 v31, v5, 0x3abb, -v46
	v_fmac_f16_e32 v60, 0x3853, v8
	v_mul_f16_e32 v46, 0xb93d, v4
	v_add_f16_e32 v22, v22, v35
	v_fmamk_f16 v35, v5, 0xb93d, v11
	v_add_f16_e32 v30, v30, v37
	v_add_f16_e32 v9, v31, v9
	;; [unrolled: 1-line block ×3, first 2 shown]
	v_fmamk_f16 v36, v8, 0x3a0c, v46
	v_mul_f16_e32 v37, 0x3b47, v59
	v_add_f16_e32 v35, v35, v38
	v_fmac_f16_e32 v46, 0xba0c, v8
	v_mul_f16_e32 v38, 0x36a6, v4
	v_fma_f16 v11, v5, 0xb93d, -v11
	v_add_f16_e32 v36, v36, v52
	v_fmamk_f16 v52, v5, 0x36a6, v37
	v_add_f16_e32 v42, v46, v42
	v_fmamk_f16 v46, v8, 0xbb47, v38
	v_mul_f16_e32 v4, 0xb08e, v4
	v_add_f16_e32 v11, v11, v48
	v_fma_f16 v37, v5, 0x36a6, -v37
	v_add_f16_e32 v48, v52, v51
	v_mul_f16_e32 v51, 0xbbeb, v59
	v_add_f16_e32 v46, v46, v49
	v_fmamk_f16 v49, v8, 0x3beb, v4
	v_fmac_f16_e32 v4, 0xbbeb, v8
	v_add_f16_e32 v37, v37, v39
	v_fmac_f16_e32 v38, 0x3b47, v8
	v_fmamk_f16 v39, v5, 0xb08e, v51
	v_fma_f16 v5, v5, 0xb08e, -v51
	v_add_f16_e32 v4, v4, v6
	v_pack_b32_f16 v6, v32, v34
	v_pack_b32_f16 v7, v21, v7
	v_add_f16_e32 v8, v38, v41
	v_add_f16_e32 v38, v39, v58
	;; [unrolled: 1-line block ×4, first 2 shown]
	ds_store_2addr_b32 v50, v6, v7 offset1:17
	v_pack_b32_f16 v6, v22, v30
	v_pack_b32_f16 v7, v35, v36
	;; [unrolled: 1-line block ×6, first 2 shown]
	v_add_nc_u32_e32 v30, 0x200, v47
	v_pack_b32_f16 v8, v11, v42
	v_pack_b32_f16 v9, v9, v31
	;; [unrolled: 1-line block ×3, first 2 shown]
	ds_store_2addr_b32 v50, v6, v7 offset0:34 offset1:51
	ds_store_2addr_b32 v50, v10, v21 offset0:68 offset1:85
	;; [unrolled: 1-line block ×4, first 2 shown]
	ds_store_b32 v50, v11 offset:680
	v_add_nc_u32_e32 v6, 0xa00, v47
	global_wb scope:SCOPE_SE
	s_wait_dscnt 0x0
	s_barrier_signal -1
	s_barrier_wait -1
	global_inv scope:SCOPE_SE
	ds_load_2addr_b32 v[4:5], v47 offset1:85
	ds_load_2addr_b32 v[21:22], v30 offset0:59 offset1:144
	ds_load_2addr_b32 v[10:11], v24 offset0:118 offset1:203
	;; [unrolled: 1-line block ×4, first 2 shown]
	v_add_nc_u32_e32 v24, 0x154, v76
	s_and_saveexec_b32 s1, s0
	s_cbranch_execz .LBB0_19
; %bb.18:
	ds_load_2addr_b32 v[25:26], v30 offset0:42 offset1:229
	ds_load_2addr_b32 v[27:28], v23 offset0:32 offset1:219
	ds_load_b32 v40, v47 offset:3672
	s_wait_dscnt 0x2
	v_lshrrev_b32_e32 v29, 16, v25
	v_lshrrev_b32_e32 v78, 16, v26
	s_wait_dscnt 0x1
	v_lshrrev_b32_e32 v80, 16, v27
	v_lshrrev_b32_e32 v79, 16, v28
	s_wait_dscnt 0x0
	v_lshrrev_b32_e32 v77, 16, v40
.LBB0_19:
	s_wait_alu 0xfffe
	s_or_b32 exec_lo, exec_lo, s1
	s_wait_dscnt 0x3
	v_lshrrev_b32_e32 v30, 16, v21
	s_wait_dscnt 0x2
	v_lshrrev_b32_e32 v31, 16, v10
	;; [unrolled: 2-line block ×4, first 2 shown]
	v_mul_f16_e32 v37, v75, v21
	v_mul_f16_e32 v36, v75, v30
	v_lshrrev_b32_e32 v38, 16, v11
	v_lshrrev_b32_e32 v35, 16, v22
	v_mul_f16_e32 v46, v70, v33
	v_mul_f16_e32 v42, v73, v8
	v_fmac_f16_e32 v36, v16, v21
	v_fma_f16 v16, v16, v30, -v37
	v_mul_f16_e32 v21, v74, v31
	v_mul_f16_e32 v30, v74, v10
	;; [unrolled: 1-line block ×3, first 2 shown]
	v_fmac_f16_e32 v46, v19, v6
	v_mul_f16_e32 v6, v70, v6
	v_fmac_f16_e32 v21, v17, v10
	v_fma_f16 v10, v17, v31, -v30
	v_fmac_f16_e32 v37, v18, v8
	v_mul_f16_e32 v30, v71, v38
	v_mul_f16_e32 v31, v71, v11
	v_lshrrev_b32_e32 v39, 16, v9
	v_lshrrev_b32_e32 v41, 16, v7
	v_fma_f16 v8, v18, v32, -v42
	v_mul_f16_e32 v17, v72, v35
	v_mul_f16_e32 v18, v72, v22
	v_fma_f16 v6, v19, v33, -v6
	v_fmac_f16_e32 v30, v13, v11
	v_fma_f16 v11, v13, v38, -v31
	v_add_f16_e32 v13, v21, v37
	v_lshrrev_b32_e32 v23, 16, v4
	v_fmac_f16_e32 v17, v12, v22
	v_fma_f16 v12, v12, v35, -v18
	v_mul_f16_e32 v18, v69, v39
	v_mul_f16_e32 v19, v69, v9
	;; [unrolled: 1-line block ×3, first 2 shown]
	v_add_f16_e32 v31, v4, v36
	v_fma_f16 v13, -0.5, v13, v4
	v_sub_f16_e32 v32, v16, v6
	v_add_f16_e32 v38, v36, v46
	v_fmac_f16_e32 v18, v14, v9
	v_fma_f16 v9, v14, v39, -v19
	v_fmac_f16_e32 v22, v15, v7
	v_add_f16_e32 v14, v31, v21
	v_fmamk_f16 v19, v32, 0xbb9c, v13
	v_sub_f16_e32 v31, v10, v8
	v_mul_f16_e32 v7, v68, v7
	v_fma_f16 v4, -0.5, v38, v4
	v_fmac_f16_e32 v13, 0x3b9c, v32
	v_add_f16_e32 v39, v23, v16
	v_sub_f16_e32 v33, v36, v21
	v_sub_f16_e32 v35, v46, v37
	v_fmac_f16_e32 v19, 0xb8b4, v31
	v_fma_f16 v7, v15, v41, -v7
	v_fmamk_f16 v15, v31, 0x3b9c, v4
	v_fmac_f16_e32 v13, 0x38b4, v31
	v_fmac_f16_e32 v4, 0xbb9c, v31
	v_add_f16_e32 v31, v39, v10
	v_add_f16_e32 v33, v33, v35
	v_sub_f16_e32 v35, v21, v36
	v_sub_f16_e32 v38, v37, v46
	v_add_f16_e32 v41, v10, v8
	v_add_f16_e32 v31, v31, v8
	;; [unrolled: 1-line block ×3, first 2 shown]
	v_fmac_f16_e32 v19, 0x34f2, v33
	v_add_f16_e32 v35, v35, v38
	v_fma_f16 v38, -0.5, v41, v23
	v_sub_f16_e32 v36, v36, v46
	v_fmac_f16_e32 v13, 0x34f2, v33
	v_add_f16_e32 v33, v16, v6
	v_sub_f16_e32 v21, v21, v37
	v_sub_f16_e32 v37, v16, v10
	;; [unrolled: 1-line block ×3, first 2 shown]
	v_add_f16_e32 v31, v31, v6
	v_sub_f16_e32 v10, v10, v16
	v_sub_f16_e32 v6, v8, v6
	v_fmac_f16_e32 v15, 0xb8b4, v32
	v_fmac_f16_e32 v4, 0x38b4, v32
	v_fmamk_f16 v32, v36, 0x3b9c, v38
	v_fmac_f16_e32 v23, -0.5, v33
	v_fmac_f16_e32 v38, 0xbb9c, v36
	v_add_f16_e32 v8, v30, v18
	v_add_f16_e32 v6, v10, v6
	;; [unrolled: 1-line block ×3, first 2 shown]
	v_lshrrev_b32_e32 v34, 16, v5
	v_fmac_f16_e32 v15, 0x34f2, v35
	v_fmac_f16_e32 v4, 0x34f2, v35
	v_fmac_f16_e32 v32, 0x38b4, v21
	v_add_f16_e32 v33, v37, v39
	v_fmamk_f16 v35, v21, 0xbb9c, v23
	v_fmac_f16_e32 v38, 0xb8b4, v21
	v_fma_f16 v8, -0.5, v8, v5
	v_sub_f16_e32 v16, v12, v7
	v_fmac_f16_e32 v23, 0x3b9c, v21
	v_add_f16_e32 v10, v10, v30
	v_add_f16_e32 v41, v17, v22
	v_fmac_f16_e32 v32, 0x34f2, v33
	v_fmac_f16_e32 v35, 0x38b4, v36
	;; [unrolled: 1-line block ×3, first 2 shown]
	v_fmamk_f16 v21, v16, 0xbb9c, v8
	v_sub_f16_e32 v33, v11, v9
	v_fmac_f16_e32 v23, 0xb8b4, v36
	v_add_f16_e32 v10, v10, v18
	v_fmac_f16_e32 v5, -0.5, v41
	v_fmac_f16_e32 v8, 0x3b9c, v16
	v_add_f16_e32 v41, v34, v12
	v_fmac_f16_e32 v35, 0x34f2, v6
	v_sub_f16_e32 v37, v17, v30
	v_sub_f16_e32 v39, v22, v18
	v_fmac_f16_e32 v21, 0xb8b4, v33
	v_fmac_f16_e32 v23, 0x34f2, v6
	v_add_f16_e32 v6, v10, v22
	v_fmamk_f16 v10, v33, 0x3b9c, v5
	v_fmac_f16_e32 v8, 0x38b4, v33
	v_fmac_f16_e32 v5, 0xbb9c, v33
	v_add_f16_e32 v33, v41, v11
	v_add_f16_e32 v36, v37, v39
	v_sub_f16_e32 v37, v30, v17
	v_sub_f16_e32 v39, v18, v22
	v_add_f16_e32 v42, v11, v9
	v_fmac_f16_e32 v10, 0xb8b4, v16
	v_fmac_f16_e32 v5, 0x38b4, v16
	v_add_f16_e32 v16, v33, v9
	v_add_f16_e32 v33, v12, v7
	;; [unrolled: 1-line block ×3, first 2 shown]
	v_fma_f16 v39, -0.5, v42, v34
	v_sub_f16_e32 v17, v17, v22
	v_sub_f16_e32 v18, v30, v18
	v_fmac_f16_e32 v34, -0.5, v33
	v_fmac_f16_e32 v21, 0x34f2, v36
	v_fmac_f16_e32 v8, 0x34f2, v36
	v_fmamk_f16 v22, v17, 0x3b9c, v39
	v_sub_f16_e32 v30, v12, v11
	v_sub_f16_e32 v36, v7, v9
	v_add_f16_e32 v16, v16, v7
	v_fmamk_f16 v33, v18, 0xbb9c, v34
	v_sub_f16_e32 v11, v11, v12
	v_sub_f16_e32 v7, v9, v7
	v_fmac_f16_e32 v39, 0xbb9c, v17
	v_fmac_f16_e32 v34, 0x3b9c, v18
	;; [unrolled: 1-line block ×3, first 2 shown]
	v_add_f16_e32 v30, v30, v36
	v_fmac_f16_e32 v33, 0x38b4, v17
	v_add_f16_e32 v7, v11, v7
	v_fmac_f16_e32 v39, 0xb8b4, v18
	v_fmac_f16_e32 v34, 0xb8b4, v17
	v_pack_b32_f16 v9, v19, v32
	v_pack_b32_f16 v11, v15, v35
	v_add_nc_u32_e32 v12, 0x200, v53
	v_add_f16_e32 v14, v14, v46
	v_fmac_f16_e32 v10, 0x34f2, v37
	v_fmac_f16_e32 v22, 0x34f2, v30
	;; [unrolled: 1-line block ×6, first 2 shown]
	ds_store_2addr_b32 v12, v9, v11 offset0:59 offset1:246
	v_pack_b32_f16 v9, v4, v23
	v_pack_b32_f16 v11, v13, v38
	v_add_nc_u32_e32 v12, 0x800, v53
	v_lshl_add_u32 v4, v45, 2, v43
	v_pack_b32_f16 v7, v14, v31
	v_pack_b32_f16 v6, v6, v16
	;; [unrolled: 1-line block ×4, first 2 shown]
	v_add_nc_u32_e32 v14, 0x200, v24
	v_pack_b32_f16 v5, v5, v34
	v_pack_b32_f16 v8, v8, v39
	v_add_nc_u32_e32 v15, 0x800, v24
	ds_store_2addr_b32 v12, v9, v11 offset0:49 offset1:236
	ds_store_2addr_b32 v53, v7, v6 offset1:85
	ds_store_2addr_b32 v14, v13, v10 offset0:59 offset1:246
	ds_store_2addr_b32 v15, v5, v8 offset0:49 offset1:236
	s_and_saveexec_b32 s1, s0
	s_cbranch_execz .LBB0_21
; %bb.20:
	v_mul_f16_e32 v5, v57, v27
	v_mul_f16_e32 v6, v54, v26
	;; [unrolled: 1-line block ×5, first 2 shown]
	v_fma_f16 v5, v1, v80, -v5
	v_fma_f16 v6, v0, v78, -v6
	v_mul_f16_e32 v9, v57, v80
	v_fma_f16 v8, v3, v77, -v8
	v_fma_f16 v7, v2, v79, -v7
	v_fmac_f16_e32 v10, v2, v28
	v_mul_f16_e32 v2, v54, v78
	v_mul_f16_e32 v12, v55, v77
	v_sub_f16_e32 v11, v5, v6
	v_fmac_f16_e32 v9, v1, v27
	v_add_f16_e32 v1, v6, v8
	v_sub_f16_e32 v13, v7, v8
	v_fmac_f16_e32 v2, v0, v26
	v_fmac_f16_e32 v12, v3, v40
	v_add_f16_e32 v0, v5, v7
	v_sub_f16_e32 v14, v9, v10
	v_fma_f16 v1, -0.5, v1, v29
	v_add_f16_e32 v3, v11, v13
	v_sub_f16_e32 v13, v2, v12
	v_fma_f16 v0, -0.5, v0, v29
	v_sub_f16_e32 v15, v6, v5
	v_fmamk_f16 v11, v14, 0x3b9c, v1
	v_fmac_f16_e32 v1, 0xbb9c, v14
	v_sub_f16_e32 v16, v8, v7
	v_fmamk_f16 v17, v13, 0xbb9c, v0
	v_add_f16_e32 v18, v29, v6
	v_fmac_f16_e32 v0, 0x3b9c, v13
	v_fmac_f16_e32 v11, 0xb8b4, v13
	;; [unrolled: 1-line block ×3, first 2 shown]
	v_add_f16_e32 v15, v15, v16
	v_fmac_f16_e32 v17, 0xb8b4, v14
	v_add_f16_e32 v13, v18, v5
	v_fmac_f16_e32 v0, 0x38b4, v14
	v_fmac_f16_e32 v11, 0x34f2, v3
	;; [unrolled: 1-line block ×4, first 2 shown]
	v_add_f16_e32 v3, v13, v7
	v_sub_f16_e32 v13, v9, v2
	v_sub_f16_e32 v14, v10, v12
	v_fmac_f16_e32 v0, 0x34f2, v15
	v_add_f16_e32 v15, v2, v12
	v_add_f16_e32 v16, v9, v10
	;; [unrolled: 1-line block ×4, first 2 shown]
	v_sub_f16_e32 v6, v6, v8
	v_fma_f16 v8, -0.5, v15, v25
	v_fma_f16 v14, -0.5, v16, v25
	v_add_f16_e32 v15, v25, v2
	v_sub_f16_e32 v5, v5, v7
	v_sub_f16_e32 v2, v2, v9
	;; [unrolled: 1-line block ×3, first 2 shown]
	v_fmamk_f16 v16, v6, 0x3b9c, v14
	v_add_f16_e32 v9, v15, v9
	v_fmac_f16_e32 v14, 0xbb9c, v6
	v_fmamk_f16 v15, v5, 0xbb9c, v8
	v_fmac_f16_e32 v8, 0x3b9c, v5
	v_add_f16_e32 v2, v2, v7
	v_add_f16_e32 v7, v9, v10
	v_fmac_f16_e32 v14, 0xb8b4, v5
	v_fmac_f16_e32 v15, 0x38b4, v6
	;; [unrolled: 1-line block ×4, first 2 shown]
	v_add_f16_e32 v5, v7, v12
	v_fmac_f16_e32 v14, 0x34f2, v2
	v_fmac_f16_e32 v15, 0x34f2, v13
	;; [unrolled: 1-line block ×4, first 2 shown]
	v_pack_b32_f16 v2, v5, v3
	v_pack_b32_f16 v0, v14, v0
	v_add_nc_u32_e32 v3, 0x200, v4
	v_pack_b32_f16 v1, v8, v1
	v_pack_b32_f16 v5, v15, v11
	v_add_nc_u32_e32 v6, 0x800, v4
	v_pack_b32_f16 v7, v16, v17
	ds_store_2addr_b32 v3, v2, v0 offset0:42 offset1:229
	ds_store_2addr_b32 v6, v1, v5 offset0:32 offset1:219
	ds_store_b32 v4, v7 offset:3672
.LBB0_21:
	s_wait_alu 0xfffe
	s_or_b32 exec_lo, exec_lo, s1
	global_wb scope:SCOPE_SE
	s_wait_dscnt 0x0
	s_barrier_signal -1
	s_barrier_wait -1
	global_inv scope:SCOPE_SE
	s_and_b32 exec_lo, exec_lo, vcc_lo
	s_cbranch_execz .LBB0_23
; %bb.22:
	global_load_b32 v0, v43, s[8:9]
	ds_load_b32 v1, v53
	s_mov_b32 s10, 0xfa401186
	s_mov_b32 s11, 0x3f5185e2
	v_mad_co_u64_u32 v[7:8], null, s4, v44, 0
	s_wait_dscnt 0x0
	v_lshrrev_b32_e32 v2, 16, v1
	s_wait_loadcnt 0x0
	v_lshrrev_b32_e32 v3, 16, v0
	s_delay_alu instid0(VALU_DEP_1) | instskip(SKIP_1) | instid1(VALU_DEP_2)
	v_mul_f16_e32 v5, v2, v3
	v_mul_f16_e32 v3, v1, v3
	v_fmac_f16_e32 v5, v1, v0
	s_delay_alu instid0(VALU_DEP_2) | instskip(NEXT) | instid1(VALU_DEP_2)
	v_fma_f16 v0, v0, v2, -v3
	v_cvt_f32_f16_e32 v1, v5
	s_delay_alu instid0(VALU_DEP_2) | instskip(SKIP_1) | instid1(VALU_DEP_3)
	v_cvt_f32_f16_e32 v2, v0
	v_mad_co_u64_u32 v[5:6], null, s6, v20, 0
	v_cvt_f64_f32_e32 v[0:1], v1
	s_delay_alu instid0(VALU_DEP_3) | instskip(SKIP_1) | instid1(VALU_DEP_2)
	v_cvt_f64_f32_e32 v[2:3], v2
	s_wait_alu 0xfffe
	v_mul_f64_e32 v[0:1], s[10:11], v[0:1]
	s_delay_alu instid0(VALU_DEP_2) | instskip(NEXT) | instid1(VALU_DEP_2)
	v_mul_f64_e32 v[2:3], s[10:11], v[2:3]
	v_and_or_b32 v0, 0x1ff, v1, v0
	v_lshrrev_b32_e32 v9, 8, v1
	v_bfe_u32 v11, v1, 20, 11
	s_delay_alu instid0(VALU_DEP_4)
	v_and_or_b32 v2, 0x1ff, v3, v2
	v_bfe_u32 v12, v3, 20, 11
	v_cmp_ne_u32_e32 vcc_lo, 0, v0
	v_lshrrev_b32_e32 v10, 8, v3
	v_sub_nc_u32_e32 v14, 0x3f1, v11
	v_lshrrev_b32_e32 v3, 16, v3
	v_sub_nc_u32_e32 v15, 0x3f1, v12
	v_cndmask_b32_e64 v13, 0, 1, vcc_lo
	v_cmp_ne_u32_e32 vcc_lo, 0, v2
	v_med3_i32 v14, v14, 0, 13
	v_add_nc_u32_e32 v12, 0xfffffc10, v12
	v_med3_i32 v15, v15, 0, 13
	v_and_or_b32 v13, 0xffe, v9, v13
	s_wait_alu 0xfffd
	v_cndmask_b32_e64 v2, 0, 1, vcc_lo
	v_mov_b32_e32 v0, v8
	v_mad_co_u64_u32 v[8:9], null, s7, v20, v[6:7]
	v_or_b32_e32 v16, 0x1000, v13
	s_delay_alu instid0(VALU_DEP_4) | instskip(NEXT) | instid1(VALU_DEP_4)
	v_and_or_b32 v2, 0xffe, v10, v2
	v_mad_co_u64_u32 v[9:10], null, s5, v44, v[0:1]
	v_add_nc_u32_e32 v11, 0xfffffc10, v11
	s_delay_alu instid0(VALU_DEP_4) | instskip(NEXT) | instid1(VALU_DEP_4)
	v_lshrrev_b32_e32 v0, v14, v16
	v_or_b32_e32 v17, 0x1000, v2
	v_mov_b32_e32 v6, v8
	s_mul_u64 s[4:5], s[4:5], 0xdc
	s_delay_alu instid0(VALU_DEP_3) | instskip(NEXT) | instid1(VALU_DEP_3)
	v_lshlrev_b32_e32 v14, v14, v0
	v_lshrrev_b32_e32 v10, v15, v17
	s_delay_alu instid0(VALU_DEP_3) | instskip(NEXT) | instid1(VALU_DEP_3)
	v_lshlrev_b64_e32 v[5:6], 2, v[5:6]
	v_cmp_ne_u32_e32 vcc_lo, v14, v16
	s_wait_alu 0xfffd
	v_cndmask_b32_e64 v14, 0, 1, vcc_lo
	s_delay_alu instid0(VALU_DEP_1) | instskip(SKIP_3) | instid1(VALU_DEP_2)
	v_or_b32_e32 v0, v0, v14
	v_lshl_or_b32 v14, v12, 12, v2
	v_dual_mov_b32 v8, v9 :: v_dual_lshlrev_b32 v9, v15, v10
	v_lshl_or_b32 v15, v11, 12, v13
	v_cmp_ne_u32_e32 vcc_lo, v9, v17
	s_wait_alu 0xfffd
	v_cndmask_b32_e64 v9, 0, 1, vcc_lo
	v_cmp_gt_i32_e32 vcc_lo, 1, v11
	s_delay_alu instid0(VALU_DEP_2)
	v_or_b32_e32 v9, v10, v9
	s_wait_alu 0xfffd
	v_cndmask_b32_e32 v0, v15, v0, vcc_lo
	v_cmp_gt_i32_e32 vcc_lo, 1, v12
	v_lshrrev_b32_e32 v10, 16, v1
	s_wait_alu 0xfffd
	v_cndmask_b32_e32 v1, v14, v9, vcc_lo
	v_cmp_ne_u32_e32 vcc_lo, 0, v13
	v_and_b32_e32 v13, 7, v0
	v_lshrrev_b32_e32 v0, 2, v0
	s_delay_alu instid0(VALU_DEP_4)
	v_and_b32_e32 v14, 7, v1
	s_wait_alu 0xfffd
	v_cndmask_b32_e64 v9, 0, 1, vcc_lo
	v_cmp_ne_u32_e32 vcc_lo, 0, v2
	v_cmp_eq_u32_e64 s0, 3, v13
	v_lshrrev_b32_e32 v1, 2, v1
	v_cmp_lt_i32_e64 s1, 5, v14
	v_cmp_eq_u32_e64 s2, 3, v14
	s_wait_alu 0xfffd
	v_cndmask_b32_e64 v2, 0, 1, vcc_lo
	v_cmp_lt_i32_e32 vcc_lo, 5, v13
	v_lshl_or_b32 v9, v9, 9, 0x7c00
	s_delay_alu instid0(VALU_DEP_3)
	v_lshl_or_b32 v2, v2, 9, 0x7c00
	s_or_b32 vcc_lo, s0, vcc_lo
	s_wait_alu 0xfffe
	v_add_co_ci_u32_e32 v0, vcc_lo, 0, v0, vcc_lo
	s_or_b32 vcc_lo, s2, s1
	s_wait_alu 0xfffe
	v_add_co_ci_u32_e32 v1, vcc_lo, 0, v1, vcc_lo
	v_cmp_gt_i32_e32 vcc_lo, 31, v11
	s_wait_alu 0xfffd
	v_cndmask_b32_e32 v0, 0x7c00, v0, vcc_lo
	v_cmp_gt_i32_e32 vcc_lo, 31, v12
	s_wait_alu 0xfffd
	v_cndmask_b32_e32 v13, 0x7c00, v1, vcc_lo
	v_cmp_eq_u32_e32 vcc_lo, 0x40f, v11
	s_wait_alu 0xfffd
	v_cndmask_b32_e32 v9, v0, v9, vcc_lo
	v_cmp_eq_u32_e32 vcc_lo, 0x40f, v12
	v_lshlrev_b64_e32 v[0:1], 2, v[7:8]
	s_delay_alu instid0(VALU_DEP_3)
	v_and_or_b32 v7, 0x8000, v10, v9
	s_wait_alu 0xfffd
	v_cndmask_b32_e32 v2, v13, v2, vcc_lo
	v_add_co_u32 v5, vcc_lo, s12, v5
	s_wait_alu 0xfffd
	v_add_co_ci_u32_e32 v6, vcc_lo, s13, v6, vcc_lo
	s_delay_alu instid0(VALU_DEP_3) | instskip(SKIP_4) | instid1(VALU_DEP_3)
	v_and_or_b32 v2, 0x8000, v3, v2
	v_and_b32_e32 v3, 0xffff, v7
	v_add_co_u32 v0, vcc_lo, v5, v0
	s_wait_alu 0xfffd
	v_add_co_ci_u32_e32 v1, vcc_lo, v6, v1, vcc_lo
	v_lshl_or_b32 v2, v2, 16, v3
	global_store_b32 v[0:1], v2, off
	global_load_b32 v5, v43, s[8:9] offset:220
	ds_load_2addr_b32 v[2:3], v4 offset0:55 offset1:110
	s_wait_dscnt 0x0
	v_lshrrev_b32_e32 v6, 16, v2
	s_wait_loadcnt 0x0
	v_lshrrev_b32_e32 v7, 16, v5
	s_delay_alu instid0(VALU_DEP_1) | instskip(SKIP_1) | instid1(VALU_DEP_2)
	v_mul_f16_e32 v8, v6, v7
	v_mul_f16_e32 v7, v2, v7
	v_fmac_f16_e32 v8, v2, v5
	s_delay_alu instid0(VALU_DEP_2) | instskip(NEXT) | instid1(VALU_DEP_2)
	v_fma_f16 v2, v5, v6, -v7
	v_cvt_f32_f16_e32 v5, v8
	s_delay_alu instid0(VALU_DEP_2) | instskip(NEXT) | instid1(VALU_DEP_2)
	v_cvt_f32_f16_e32 v2, v2
	v_cvt_f64_f32_e32 v[5:6], v5
	s_delay_alu instid0(VALU_DEP_2) | instskip(NEXT) | instid1(VALU_DEP_2)
	v_cvt_f64_f32_e32 v[7:8], v2
	v_mul_f64_e32 v[5:6], s[10:11], v[5:6]
	s_delay_alu instid0(VALU_DEP_2) | instskip(NEXT) | instid1(VALU_DEP_2)
	v_mul_f64_e32 v[7:8], s[10:11], v[7:8]
	v_and_or_b32 v2, 0x1ff, v6, v5
	s_delay_alu instid0(VALU_DEP_2)
	v_and_or_b32 v7, 0x1ff, v8, v7
	v_lshrrev_b32_e32 v5, 8, v6
	v_bfe_u32 v9, v6, 20, 11
	v_lshrrev_b32_e32 v10, 8, v8
	v_cmp_ne_u32_e32 vcc_lo, 0, v2
	v_bfe_u32 v11, v8, 20, 11
	v_lshrrev_b32_e32 v6, 16, v6
	v_sub_nc_u32_e32 v12, 0x3f1, v9
	v_add_nc_u32_e32 v9, 0xfffffc10, v9
	s_wait_alu 0xfffd
	v_cndmask_b32_e64 v2, 0, 1, vcc_lo
	v_cmp_ne_u32_e32 vcc_lo, 0, v7
	v_lshrrev_b32_e32 v8, 16, v8
	s_delay_alu instid0(VALU_DEP_3) | instskip(SKIP_4) | instid1(VALU_DEP_3)
	v_and_or_b32 v2, 0xffe, v5, v2
	s_wait_alu 0xfffd
	v_cndmask_b32_e64 v7, 0, 1, vcc_lo
	v_sub_nc_u32_e32 v5, 0x3f1, v11
	v_add_nc_u32_e32 v11, 0xfffffc10, v11
	v_and_or_b32 v7, 0xffe, v10, v7
	v_med3_i32 v10, v12, 0, 13
	v_or_b32_e32 v12, 0x1000, v2
	v_med3_i32 v5, v5, 0, 13
	s_delay_alu instid0(VALU_DEP_4) | instskip(NEXT) | instid1(VALU_DEP_3)
	v_or_b32_e32 v13, 0x1000, v7
	v_lshrrev_b32_e32 v14, v10, v12
	s_delay_alu instid0(VALU_DEP_2) | instskip(NEXT) | instid1(VALU_DEP_2)
	v_lshrrev_b32_e32 v15, v5, v13
	v_lshlrev_b32_e32 v10, v10, v14
	s_delay_alu instid0(VALU_DEP_2) | instskip(NEXT) | instid1(VALU_DEP_2)
	v_lshlrev_b32_e32 v5, v5, v15
	v_cmp_ne_u32_e32 vcc_lo, v10, v12
	v_lshl_or_b32 v12, v9, 12, v2
	s_wait_alu 0xfffd
	v_cndmask_b32_e64 v10, 0, 1, vcc_lo
	v_cmp_ne_u32_e32 vcc_lo, v5, v13
	v_lshl_or_b32 v13, v11, 12, v7
	s_delay_alu instid0(VALU_DEP_3) | instskip(SKIP_3) | instid1(VALU_DEP_2)
	v_or_b32_e32 v10, v14, v10
	s_wait_alu 0xfffd
	v_cndmask_b32_e64 v5, 0, 1, vcc_lo
	v_cmp_gt_i32_e32 vcc_lo, 1, v9
	v_or_b32_e32 v5, v15, v5
	s_wait_alu 0xfffd
	v_cndmask_b32_e32 v10, v12, v10, vcc_lo
	v_cmp_gt_i32_e32 vcc_lo, 1, v11
	s_wait_alu 0xfffd
	s_delay_alu instid0(VALU_DEP_2) | instskip(SKIP_2) | instid1(VALU_DEP_3)
	v_dual_cndmask_b32 v5, v13, v5 :: v_dual_and_b32 v12, 7, v10
	v_cmp_ne_u32_e32 vcc_lo, 0, v2
	v_lshrrev_b32_e32 v10, 2, v10
	v_cmp_eq_u32_e64 s0, 3, v12
	s_wait_alu 0xfffd
	v_cndmask_b32_e64 v2, 0, 1, vcc_lo
	v_cmp_ne_u32_e32 vcc_lo, 0, v7
	s_delay_alu instid0(VALU_DEP_2) | instskip(SKIP_3) | instid1(VALU_DEP_2)
	v_lshl_or_b32 v2, v2, 9, 0x7c00
	s_wait_alu 0xfffd
	v_cndmask_b32_e64 v7, 0, 1, vcc_lo
	v_cmp_lt_i32_e32 vcc_lo, 5, v12
	v_lshl_or_b32 v7, v7, 9, 0x7c00
	s_or_b32 vcc_lo, s0, vcc_lo
	s_wait_alu 0xfffe
	v_add_co_ci_u32_e32 v10, vcc_lo, 0, v10, vcc_lo
	v_and_b32_e32 v13, 7, v5
	v_lshrrev_b32_e32 v5, 2, v5
	s_delay_alu instid0(VALU_DEP_2) | instskip(SKIP_1) | instid1(VALU_DEP_1)
	v_cmp_lt_i32_e64 s1, 5, v13
	v_cmp_eq_u32_e64 s2, 3, v13
	s_or_b32 vcc_lo, s2, s1
	s_wait_alu 0xfffe
	v_add_co_ci_u32_e32 v5, vcc_lo, 0, v5, vcc_lo
	v_cmp_gt_i32_e32 vcc_lo, 31, v9
	s_wait_alu 0xfffd
	v_cndmask_b32_e32 v10, 0x7c00, v10, vcc_lo
	v_cmp_gt_i32_e32 vcc_lo, 31, v11
	s_wait_alu 0xfffd
	v_cndmask_b32_e32 v5, 0x7c00, v5, vcc_lo
	v_cmp_eq_u32_e32 vcc_lo, 0x40f, v9
	s_wait_alu 0xfffd
	v_cndmask_b32_e32 v2, v10, v2, vcc_lo
	v_cmp_eq_u32_e32 vcc_lo, 0x40f, v11
	s_delay_alu instid0(VALU_DEP_2)
	v_and_or_b32 v2, 0x8000, v6, v2
	s_wait_alu 0xfffd
	v_cndmask_b32_e32 v5, v5, v7, vcc_lo
	v_add_co_u32 v0, vcc_lo, v0, s4
	s_wait_alu 0xfffd
	v_add_co_ci_u32_e32 v1, vcc_lo, s5, v1, vcc_lo
	s_delay_alu instid0(VALU_DEP_3) | instskip(SKIP_1) | instid1(VALU_DEP_1)
	v_and_or_b32 v5, 0x8000, v8, v5
	v_and_b32_e32 v2, 0xffff, v2
	v_lshl_or_b32 v2, v5, 16, v2
	v_lshrrev_b32_e32 v5, 16, v3
	global_store_b32 v[0:1], v2, off
	global_load_b32 v2, v43, s[8:9] offset:440
	s_wait_loadcnt 0x0
	v_lshrrev_b32_e32 v6, 16, v2
	s_delay_alu instid0(VALU_DEP_1) | instskip(SKIP_1) | instid1(VALU_DEP_2)
	v_mul_f16_e32 v7, v5, v6
	v_mul_f16_e32 v6, v3, v6
	v_fmac_f16_e32 v7, v3, v2
	s_delay_alu instid0(VALU_DEP_2) | instskip(NEXT) | instid1(VALU_DEP_2)
	v_fma_f16 v2, v2, v5, -v6
	v_cvt_f32_f16_e32 v3, v7
	s_delay_alu instid0(VALU_DEP_2) | instskip(NEXT) | instid1(VALU_DEP_2)
	v_cvt_f32_f16_e32 v5, v2
	v_cvt_f64_f32_e32 v[2:3], v3
	s_delay_alu instid0(VALU_DEP_2) | instskip(NEXT) | instid1(VALU_DEP_2)
	v_cvt_f64_f32_e32 v[5:6], v5
	v_mul_f64_e32 v[2:3], s[10:11], v[2:3]
	s_delay_alu instid0(VALU_DEP_2) | instskip(NEXT) | instid1(VALU_DEP_2)
	v_mul_f64_e32 v[5:6], s[10:11], v[5:6]
	v_and_or_b32 v2, 0x1ff, v3, v2
	s_delay_alu instid0(VALU_DEP_2)
	v_and_or_b32 v5, 0x1ff, v6, v5
	v_lshrrev_b32_e32 v7, 8, v3
	v_bfe_u32 v8, v3, 20, 11
	v_lshrrev_b32_e32 v9, 8, v6
	v_cmp_ne_u32_e32 vcc_lo, 0, v2
	v_bfe_u32 v10, v6, 20, 11
	v_lshrrev_b32_e32 v3, 16, v3
	v_sub_nc_u32_e32 v11, 0x3f1, v8
	v_lshrrev_b32_e32 v6, 16, v6
	s_wait_alu 0xfffd
	v_cndmask_b32_e64 v2, 0, 1, vcc_lo
	v_cmp_ne_u32_e32 vcc_lo, 0, v5
	s_delay_alu instid0(VALU_DEP_2) | instskip(SKIP_4) | instid1(VALU_DEP_3)
	v_and_or_b32 v2, 0xffe, v7, v2
	s_wait_alu 0xfffd
	v_cndmask_b32_e64 v5, 0, 1, vcc_lo
	v_sub_nc_u32_e32 v7, 0x3f1, v10
	v_add_nc_u32_e32 v10, 0xfffffc10, v10
	v_and_or_b32 v5, 0xffe, v9, v5
	v_med3_i32 v9, v11, 0, 13
	v_or_b32_e32 v11, 0x1000, v2
	v_med3_i32 v7, v7, 0, 13
	s_delay_alu instid0(VALU_DEP_4) | instskip(NEXT) | instid1(VALU_DEP_3)
	v_or_b32_e32 v12, 0x1000, v5
	v_lshrrev_b32_e32 v13, v9, v11
	s_delay_alu instid0(VALU_DEP_2) | instskip(NEXT) | instid1(VALU_DEP_2)
	v_lshrrev_b32_e32 v14, v7, v12
	v_lshlrev_b32_e32 v9, v9, v13
	s_delay_alu instid0(VALU_DEP_2) | instskip(NEXT) | instid1(VALU_DEP_2)
	v_lshlrev_b32_e32 v7, v7, v14
	v_cmp_ne_u32_e32 vcc_lo, v9, v11
	s_wait_alu 0xfffd
	v_cndmask_b32_e64 v9, 0, 1, vcc_lo
	s_delay_alu instid0(VALU_DEP_3) | instskip(SKIP_1) | instid1(VALU_DEP_3)
	v_cmp_ne_u32_e32 vcc_lo, v7, v12
	v_lshl_or_b32 v12, v10, 12, v5
	v_or_b32_e32 v9, v13, v9
	s_wait_alu 0xfffd
	v_cndmask_b32_e64 v7, 0, 1, vcc_lo
	s_delay_alu instid0(VALU_DEP_1) | instskip(SKIP_1) | instid1(VALU_DEP_1)
	v_or_b32_e32 v7, v14, v7
	v_add_nc_u32_e32 v8, 0xfffffc10, v8
	v_lshl_or_b32 v11, v8, 12, v2
	v_cmp_gt_i32_e32 vcc_lo, 1, v8
	s_wait_alu 0xfffd
	s_delay_alu instid0(VALU_DEP_2)
	v_cndmask_b32_e32 v9, v11, v9, vcc_lo
	v_cmp_gt_i32_e32 vcc_lo, 1, v10
	s_wait_alu 0xfffd
	v_cndmask_b32_e32 v7, v12, v7, vcc_lo
	v_cmp_ne_u32_e32 vcc_lo, 0, v2
	s_wait_alu 0xfffd
	v_cndmask_b32_e64 v2, 0, 1, vcc_lo
	v_cmp_ne_u32_e32 vcc_lo, 0, v5
	s_delay_alu instid0(VALU_DEP_2) | instskip(SKIP_4) | instid1(VALU_DEP_3)
	v_lshl_or_b32 v2, v2, 9, 0x7c00
	v_and_b32_e32 v11, 7, v9
	s_wait_alu 0xfffd
	v_cndmask_b32_e64 v5, 0, 1, vcc_lo
	v_lshrrev_b32_e32 v9, 2, v9
	v_cmp_lt_i32_e32 vcc_lo, 5, v11
	v_cmp_eq_u32_e64 s0, 3, v11
	s_delay_alu instid0(VALU_DEP_4) | instskip(NEXT) | instid1(VALU_DEP_2)
	v_lshl_or_b32 v5, v5, 9, 0x7c00
	s_or_b32 vcc_lo, s0, vcc_lo
	s_wait_alu 0xfffe
	v_add_co_ci_u32_e32 v9, vcc_lo, 0, v9, vcc_lo
	v_and_b32_e32 v12, 7, v7
	v_lshrrev_b32_e32 v7, 2, v7
	s_delay_alu instid0(VALU_DEP_2) | instskip(SKIP_1) | instid1(VALU_DEP_1)
	v_cmp_lt_i32_e64 s1, 5, v12
	v_cmp_eq_u32_e64 s2, 3, v12
	s_or_b32 vcc_lo, s2, s1
	s_wait_alu 0xfffe
	v_add_co_ci_u32_e32 v7, vcc_lo, 0, v7, vcc_lo
	v_cmp_gt_i32_e32 vcc_lo, 31, v8
	s_wait_alu 0xfffd
	v_cndmask_b32_e32 v9, 0x7c00, v9, vcc_lo
	v_cmp_gt_i32_e32 vcc_lo, 31, v10
	s_wait_alu 0xfffd
	v_cndmask_b32_e32 v7, 0x7c00, v7, vcc_lo
	v_cmp_eq_u32_e32 vcc_lo, 0x40f, v8
	s_wait_alu 0xfffd
	v_cndmask_b32_e32 v2, v9, v2, vcc_lo
	v_cmp_eq_u32_e32 vcc_lo, 0x40f, v10
	s_delay_alu instid0(VALU_DEP_2)
	v_and_or_b32 v2, 0x8000, v3, v2
	s_wait_alu 0xfffd
	v_cndmask_b32_e32 v5, v7, v5, vcc_lo
	v_add_co_u32 v0, vcc_lo, v0, s4
	s_wait_alu 0xfffd
	v_add_co_ci_u32_e32 v1, vcc_lo, s5, v1, vcc_lo
	s_delay_alu instid0(VALU_DEP_3) | instskip(SKIP_1) | instid1(VALU_DEP_1)
	v_and_or_b32 v3, 0x8000, v6, v5
	v_and_b32_e32 v2, 0xffff, v2
	v_lshl_or_b32 v2, v3, 16, v2
	global_store_b32 v[0:1], v2, off
	global_load_b32 v5, v43, s[8:9] offset:660
	ds_load_2addr_b32 v[2:3], v4 offset0:165 offset1:220
	s_wait_dscnt 0x0
	v_lshrrev_b32_e32 v6, 16, v2
	s_wait_loadcnt 0x0
	v_lshrrev_b32_e32 v7, 16, v5
	s_delay_alu instid0(VALU_DEP_1) | instskip(SKIP_1) | instid1(VALU_DEP_2)
	v_mul_f16_e32 v8, v6, v7
	v_mul_f16_e32 v7, v2, v7
	v_fmac_f16_e32 v8, v2, v5
	s_delay_alu instid0(VALU_DEP_2) | instskip(NEXT) | instid1(VALU_DEP_2)
	v_fma_f16 v2, v5, v6, -v7
	v_cvt_f32_f16_e32 v5, v8
	s_delay_alu instid0(VALU_DEP_2) | instskip(NEXT) | instid1(VALU_DEP_2)
	v_cvt_f32_f16_e32 v2, v2
	v_cvt_f64_f32_e32 v[5:6], v5
	s_delay_alu instid0(VALU_DEP_2) | instskip(NEXT) | instid1(VALU_DEP_2)
	v_cvt_f64_f32_e32 v[7:8], v2
	v_mul_f64_e32 v[5:6], s[10:11], v[5:6]
	s_delay_alu instid0(VALU_DEP_2) | instskip(NEXT) | instid1(VALU_DEP_2)
	v_mul_f64_e32 v[7:8], s[10:11], v[7:8]
	v_and_or_b32 v2, 0x1ff, v6, v5
	s_delay_alu instid0(VALU_DEP_2)
	v_and_or_b32 v7, 0x1ff, v8, v7
	v_lshrrev_b32_e32 v5, 8, v6
	v_bfe_u32 v9, v6, 20, 11
	v_lshrrev_b32_e32 v10, 8, v8
	v_cmp_ne_u32_e32 vcc_lo, 0, v2
	v_bfe_u32 v11, v8, 20, 11
	v_lshrrev_b32_e32 v6, 16, v6
	v_sub_nc_u32_e32 v12, 0x3f1, v9
	v_add_nc_u32_e32 v9, 0xfffffc10, v9
	s_wait_alu 0xfffd
	v_cndmask_b32_e64 v2, 0, 1, vcc_lo
	v_cmp_ne_u32_e32 vcc_lo, 0, v7
	v_lshrrev_b32_e32 v8, 16, v8
	s_delay_alu instid0(VALU_DEP_3) | instskip(SKIP_4) | instid1(VALU_DEP_3)
	v_and_or_b32 v2, 0xffe, v5, v2
	s_wait_alu 0xfffd
	v_cndmask_b32_e64 v7, 0, 1, vcc_lo
	v_sub_nc_u32_e32 v5, 0x3f1, v11
	v_add_nc_u32_e32 v11, 0xfffffc10, v11
	v_and_or_b32 v7, 0xffe, v10, v7
	v_med3_i32 v10, v12, 0, 13
	v_or_b32_e32 v12, 0x1000, v2
	v_med3_i32 v5, v5, 0, 13
	s_delay_alu instid0(VALU_DEP_4) | instskip(NEXT) | instid1(VALU_DEP_3)
	v_or_b32_e32 v13, 0x1000, v7
	v_lshrrev_b32_e32 v14, v10, v12
	s_delay_alu instid0(VALU_DEP_2) | instskip(NEXT) | instid1(VALU_DEP_2)
	v_lshrrev_b32_e32 v15, v5, v13
	v_lshlrev_b32_e32 v10, v10, v14
	s_delay_alu instid0(VALU_DEP_2) | instskip(NEXT) | instid1(VALU_DEP_2)
	v_lshlrev_b32_e32 v5, v5, v15
	v_cmp_ne_u32_e32 vcc_lo, v10, v12
	v_lshl_or_b32 v12, v9, 12, v2
	s_wait_alu 0xfffd
	v_cndmask_b32_e64 v10, 0, 1, vcc_lo
	v_cmp_ne_u32_e32 vcc_lo, v5, v13
	v_lshl_or_b32 v13, v11, 12, v7
	s_delay_alu instid0(VALU_DEP_3) | instskip(SKIP_3) | instid1(VALU_DEP_2)
	v_or_b32_e32 v10, v14, v10
	s_wait_alu 0xfffd
	v_cndmask_b32_e64 v5, 0, 1, vcc_lo
	v_cmp_gt_i32_e32 vcc_lo, 1, v9
	v_or_b32_e32 v5, v15, v5
	s_wait_alu 0xfffd
	v_cndmask_b32_e32 v10, v12, v10, vcc_lo
	v_cmp_gt_i32_e32 vcc_lo, 1, v11
	s_wait_alu 0xfffd
	s_delay_alu instid0(VALU_DEP_2) | instskip(SKIP_2) | instid1(VALU_DEP_3)
	v_dual_cndmask_b32 v5, v13, v5 :: v_dual_and_b32 v12, 7, v10
	v_cmp_ne_u32_e32 vcc_lo, 0, v2
	v_lshrrev_b32_e32 v10, 2, v10
	v_cmp_eq_u32_e64 s0, 3, v12
	s_delay_alu instid0(VALU_DEP_4)
	v_and_b32_e32 v13, 7, v5
	s_wait_alu 0xfffd
	v_cndmask_b32_e64 v2, 0, 1, vcc_lo
	v_cmp_ne_u32_e32 vcc_lo, 0, v7
	v_lshrrev_b32_e32 v5, 2, v5
	v_cmp_lt_i32_e64 s1, 5, v13
	v_cmp_eq_u32_e64 s2, 3, v13
	s_wait_alu 0xfffd
	v_cndmask_b32_e64 v7, 0, 1, vcc_lo
	v_cmp_lt_i32_e32 vcc_lo, 5, v12
	v_lshl_or_b32 v2, v2, 9, 0x7c00
	s_delay_alu instid0(VALU_DEP_3)
	v_lshl_or_b32 v7, v7, 9, 0x7c00
	s_or_b32 vcc_lo, s0, vcc_lo
	s_wait_alu 0xfffe
	v_add_co_ci_u32_e32 v10, vcc_lo, 0, v10, vcc_lo
	s_or_b32 vcc_lo, s2, s1
	s_wait_alu 0xfffe
	v_add_co_ci_u32_e32 v5, vcc_lo, 0, v5, vcc_lo
	v_cmp_gt_i32_e32 vcc_lo, 31, v9
	s_wait_alu 0xfffd
	v_cndmask_b32_e32 v10, 0x7c00, v10, vcc_lo
	v_cmp_gt_i32_e32 vcc_lo, 31, v11
	s_wait_alu 0xfffd
	v_cndmask_b32_e32 v5, 0x7c00, v5, vcc_lo
	v_cmp_eq_u32_e32 vcc_lo, 0x40f, v9
	s_wait_alu 0xfffd
	v_cndmask_b32_e32 v2, v10, v2, vcc_lo
	v_cmp_eq_u32_e32 vcc_lo, 0x40f, v11
	s_delay_alu instid0(VALU_DEP_2)
	v_and_or_b32 v2, 0x8000, v6, v2
	s_wait_alu 0xfffd
	v_cndmask_b32_e32 v5, v5, v7, vcc_lo
	v_add_co_u32 v0, vcc_lo, v0, s4
	s_wait_alu 0xfffd
	v_add_co_ci_u32_e32 v1, vcc_lo, s5, v1, vcc_lo
	v_and_b32_e32 v2, 0xffff, v2
	v_and_or_b32 v5, 0x8000, v8, v5
	s_delay_alu instid0(VALU_DEP_1)
	v_lshl_or_b32 v2, v5, 16, v2
	v_lshrrev_b32_e32 v5, 16, v3
	global_store_b32 v[0:1], v2, off
	global_load_b32 v2, v43, s[8:9] offset:880
	s_wait_loadcnt 0x0
	v_lshrrev_b32_e32 v6, 16, v2
	s_delay_alu instid0(VALU_DEP_1) | instskip(SKIP_1) | instid1(VALU_DEP_2)
	v_mul_f16_e32 v7, v5, v6
	v_mul_f16_e32 v6, v3, v6
	v_fmac_f16_e32 v7, v3, v2
	s_delay_alu instid0(VALU_DEP_2) | instskip(NEXT) | instid1(VALU_DEP_2)
	v_fma_f16 v2, v2, v5, -v6
	v_cvt_f32_f16_e32 v3, v7
	s_delay_alu instid0(VALU_DEP_2) | instskip(NEXT) | instid1(VALU_DEP_2)
	v_cvt_f32_f16_e32 v5, v2
	v_cvt_f64_f32_e32 v[2:3], v3
	s_delay_alu instid0(VALU_DEP_2) | instskip(NEXT) | instid1(VALU_DEP_2)
	v_cvt_f64_f32_e32 v[5:6], v5
	v_mul_f64_e32 v[2:3], s[10:11], v[2:3]
	s_delay_alu instid0(VALU_DEP_2) | instskip(NEXT) | instid1(VALU_DEP_2)
	v_mul_f64_e32 v[5:6], s[10:11], v[5:6]
	v_and_or_b32 v2, 0x1ff, v3, v2
	s_delay_alu instid0(VALU_DEP_2)
	v_and_or_b32 v5, 0x1ff, v6, v5
	v_lshrrev_b32_e32 v7, 8, v3
	v_bfe_u32 v8, v3, 20, 11
	v_lshrrev_b32_e32 v9, 8, v6
	v_cmp_ne_u32_e32 vcc_lo, 0, v2
	v_bfe_u32 v10, v6, 20, 11
	v_lshrrev_b32_e32 v3, 16, v3
	v_sub_nc_u32_e32 v11, 0x3f1, v8
	v_lshrrev_b32_e32 v6, 16, v6
	s_wait_alu 0xfffd
	v_cndmask_b32_e64 v2, 0, 1, vcc_lo
	v_cmp_ne_u32_e32 vcc_lo, 0, v5
	s_delay_alu instid0(VALU_DEP_2) | instskip(SKIP_3) | instid1(VALU_DEP_2)
	v_and_or_b32 v2, 0xffe, v7, v2
	s_wait_alu 0xfffd
	v_cndmask_b32_e64 v5, 0, 1, vcc_lo
	v_sub_nc_u32_e32 v7, 0x3f1, v10
	v_and_or_b32 v5, 0xffe, v9, v5
	v_med3_i32 v9, v11, 0, 13
	v_or_b32_e32 v11, 0x1000, v2
	s_delay_alu instid0(VALU_DEP_4) | instskip(NEXT) | instid1(VALU_DEP_4)
	v_med3_i32 v7, v7, 0, 13
	v_or_b32_e32 v12, 0x1000, v5
	s_delay_alu instid0(VALU_DEP_3) | instskip(NEXT) | instid1(VALU_DEP_2)
	v_lshrrev_b32_e32 v13, v9, v11
	v_lshrrev_b32_e32 v14, v7, v12
	s_delay_alu instid0(VALU_DEP_2) | instskip(NEXT) | instid1(VALU_DEP_2)
	v_lshlrev_b32_e32 v9, v9, v13
	v_lshlrev_b32_e32 v7, v7, v14
	s_delay_alu instid0(VALU_DEP_2) | instskip(SKIP_2) | instid1(VALU_DEP_3)
	v_cmp_ne_u32_e32 vcc_lo, v9, v11
	s_wait_alu 0xfffd
	v_cndmask_b32_e64 v9, 0, 1, vcc_lo
	v_cmp_ne_u32_e32 vcc_lo, v7, v12
	s_delay_alu instid0(VALU_DEP_2) | instskip(SKIP_3) | instid1(VALU_DEP_2)
	v_or_b32_e32 v9, v13, v9
	v_add_nc_u32_e32 v8, 0xfffffc10, v8
	s_wait_alu 0xfffd
	v_cndmask_b32_e64 v7, 0, 1, vcc_lo
	v_lshl_or_b32 v11, v8, 12, v2
	s_delay_alu instid0(VALU_DEP_2) | instskip(SKIP_2) | instid1(VALU_DEP_2)
	v_or_b32_e32 v7, v14, v7
	v_add_nc_u32_e32 v10, 0xfffffc10, v10
	v_cmp_gt_i32_e32 vcc_lo, 1, v8
	v_lshl_or_b32 v12, v10, 12, v5
	s_wait_alu 0xfffd
	v_cndmask_b32_e32 v9, v11, v9, vcc_lo
	v_cmp_gt_i32_e32 vcc_lo, 1, v10
	s_delay_alu instid0(VALU_DEP_2)
	v_and_b32_e32 v11, 7, v9
	s_wait_alu 0xfffd
	v_cndmask_b32_e32 v7, v12, v7, vcc_lo
	v_cmp_ne_u32_e32 vcc_lo, 0, v2
	v_lshrrev_b32_e32 v9, 2, v9
	v_cmp_eq_u32_e64 s0, 3, v11
	s_wait_alu 0xfffd
	v_cndmask_b32_e64 v2, 0, 1, vcc_lo
	v_cmp_ne_u32_e32 vcc_lo, 0, v5
	s_delay_alu instid0(VALU_DEP_2) | instskip(SKIP_3) | instid1(VALU_DEP_2)
	v_lshl_or_b32 v2, v2, 9, 0x7c00
	s_wait_alu 0xfffd
	v_cndmask_b32_e64 v5, 0, 1, vcc_lo
	v_cmp_lt_i32_e32 vcc_lo, 5, v11
	v_lshl_or_b32 v5, v5, 9, 0x7c00
	s_or_b32 vcc_lo, s0, vcc_lo
	s_wait_alu 0xfffe
	v_add_co_ci_u32_e32 v9, vcc_lo, 0, v9, vcc_lo
	v_and_b32_e32 v12, 7, v7
	v_lshrrev_b32_e32 v7, 2, v7
	s_delay_alu instid0(VALU_DEP_2) | instskip(SKIP_1) | instid1(VALU_DEP_1)
	v_cmp_lt_i32_e64 s1, 5, v12
	v_cmp_eq_u32_e64 s2, 3, v12
	s_or_b32 vcc_lo, s2, s1
	s_wait_alu 0xfffe
	v_add_co_ci_u32_e32 v7, vcc_lo, 0, v7, vcc_lo
	v_cmp_gt_i32_e32 vcc_lo, 31, v8
	s_wait_alu 0xfffd
	v_cndmask_b32_e32 v9, 0x7c00, v9, vcc_lo
	v_cmp_gt_i32_e32 vcc_lo, 31, v10
	s_wait_alu 0xfffd
	v_cndmask_b32_e32 v7, 0x7c00, v7, vcc_lo
	v_cmp_eq_u32_e32 vcc_lo, 0x40f, v8
	s_wait_alu 0xfffd
	v_cndmask_b32_e32 v2, v9, v2, vcc_lo
	v_cmp_eq_u32_e32 vcc_lo, 0x40f, v10
	v_add_nc_u32_e32 v9, 0x400, v4
	s_delay_alu instid0(VALU_DEP_3)
	v_and_or_b32 v2, 0x8000, v3, v2
	s_wait_alu 0xfffd
	v_cndmask_b32_e32 v5, v7, v5, vcc_lo
	v_add_co_u32 v0, vcc_lo, v0, s4
	s_wait_alu 0xfffd
	v_add_co_ci_u32_e32 v1, vcc_lo, s5, v1, vcc_lo
	v_and_b32_e32 v2, 0xffff, v2
	v_and_or_b32 v3, 0x8000, v6, v5
	s_delay_alu instid0(VALU_DEP_1)
	v_lshl_or_b32 v2, v3, 16, v2
	global_store_b32 v[0:1], v2, off
	global_load_b32 v5, v43, s[8:9] offset:1100
	ds_load_2addr_b32 v[2:3], v9 offset0:19 offset1:74
	s_wait_dscnt 0x0
	v_lshrrev_b32_e32 v6, 16, v2
	s_wait_loadcnt 0x0
	v_lshrrev_b32_e32 v7, 16, v5
	s_delay_alu instid0(VALU_DEP_1) | instskip(SKIP_1) | instid1(VALU_DEP_2)
	v_mul_f16_e32 v8, v6, v7
	v_mul_f16_e32 v7, v2, v7
	v_fmac_f16_e32 v8, v2, v5
	s_delay_alu instid0(VALU_DEP_2) | instskip(NEXT) | instid1(VALU_DEP_2)
	v_fma_f16 v2, v5, v6, -v7
	v_cvt_f32_f16_e32 v5, v8
	s_delay_alu instid0(VALU_DEP_2) | instskip(NEXT) | instid1(VALU_DEP_2)
	v_cvt_f32_f16_e32 v2, v2
	v_cvt_f64_f32_e32 v[5:6], v5
	s_delay_alu instid0(VALU_DEP_2) | instskip(NEXT) | instid1(VALU_DEP_2)
	v_cvt_f64_f32_e32 v[7:8], v2
	v_mul_f64_e32 v[5:6], s[10:11], v[5:6]
	s_delay_alu instid0(VALU_DEP_2) | instskip(NEXT) | instid1(VALU_DEP_2)
	v_mul_f64_e32 v[7:8], s[10:11], v[7:8]
	v_and_or_b32 v2, 0x1ff, v6, v5
	s_delay_alu instid0(VALU_DEP_2)
	v_and_or_b32 v7, 0x1ff, v8, v7
	v_lshrrev_b32_e32 v5, 8, v6
	v_bfe_u32 v10, v6, 20, 11
	v_lshrrev_b32_e32 v11, 8, v8
	v_cmp_ne_u32_e32 vcc_lo, 0, v2
	v_bfe_u32 v12, v8, 20, 11
	v_lshrrev_b32_e32 v6, 16, v6
	v_sub_nc_u32_e32 v13, 0x3f1, v10
	v_lshrrev_b32_e32 v8, 16, v8
	s_wait_alu 0xfffd
	v_cndmask_b32_e64 v2, 0, 1, vcc_lo
	v_cmp_ne_u32_e32 vcc_lo, 0, v7
	s_delay_alu instid0(VALU_DEP_2) | instskip(SKIP_3) | instid1(VALU_DEP_2)
	v_and_or_b32 v2, 0xffe, v5, v2
	s_wait_alu 0xfffd
	v_cndmask_b32_e64 v7, 0, 1, vcc_lo
	v_sub_nc_u32_e32 v5, 0x3f1, v12
	v_and_or_b32 v7, 0xffe, v11, v7
	v_med3_i32 v11, v13, 0, 13
	v_or_b32_e32 v13, 0x1000, v2
	s_delay_alu instid0(VALU_DEP_4) | instskip(NEXT) | instid1(VALU_DEP_4)
	v_med3_i32 v5, v5, 0, 13
	v_or_b32_e32 v14, 0x1000, v7
	s_delay_alu instid0(VALU_DEP_3) | instskip(NEXT) | instid1(VALU_DEP_2)
	v_lshrrev_b32_e32 v15, v11, v13
	v_lshrrev_b32_e32 v16, v5, v14
	s_delay_alu instid0(VALU_DEP_2) | instskip(NEXT) | instid1(VALU_DEP_2)
	v_lshlrev_b32_e32 v11, v11, v15
	v_lshlrev_b32_e32 v5, v5, v16
	s_delay_alu instid0(VALU_DEP_2) | instskip(SKIP_2) | instid1(VALU_DEP_3)
	v_cmp_ne_u32_e32 vcc_lo, v11, v13
	s_wait_alu 0xfffd
	v_cndmask_b32_e64 v11, 0, 1, vcc_lo
	v_cmp_ne_u32_e32 vcc_lo, v5, v14
	s_delay_alu instid0(VALU_DEP_2) | instskip(SKIP_3) | instid1(VALU_DEP_2)
	v_or_b32_e32 v11, v15, v11
	v_add_nc_u32_e32 v10, 0xfffffc10, v10
	s_wait_alu 0xfffd
	v_cndmask_b32_e64 v5, 0, 1, vcc_lo
	v_lshl_or_b32 v13, v10, 12, v2
	s_delay_alu instid0(VALU_DEP_2) | instskip(SKIP_2) | instid1(VALU_DEP_2)
	v_or_b32_e32 v5, v16, v5
	v_add_nc_u32_e32 v12, 0xfffffc10, v12
	v_cmp_gt_i32_e32 vcc_lo, 1, v10
	v_lshl_or_b32 v14, v12, 12, v7
	s_wait_alu 0xfffd
	v_cndmask_b32_e32 v11, v13, v11, vcc_lo
	v_cmp_gt_i32_e32 vcc_lo, 1, v12
	s_delay_alu instid0(VALU_DEP_2)
	v_and_b32_e32 v13, 7, v11
	s_wait_alu 0xfffd
	v_cndmask_b32_e32 v5, v14, v5, vcc_lo
	v_cmp_ne_u32_e32 vcc_lo, 0, v2
	v_lshrrev_b32_e32 v11, 2, v11
	v_cmp_eq_u32_e64 s0, 3, v13
	s_delay_alu instid0(VALU_DEP_4)
	v_and_b32_e32 v14, 7, v5
	s_wait_alu 0xfffd
	v_cndmask_b32_e64 v2, 0, 1, vcc_lo
	v_cmp_ne_u32_e32 vcc_lo, 0, v7
	v_lshrrev_b32_e32 v5, 2, v5
	v_cmp_lt_i32_e64 s1, 5, v14
	v_cmp_eq_u32_e64 s2, 3, v14
	s_wait_alu 0xfffd
	v_cndmask_b32_e64 v7, 0, 1, vcc_lo
	v_cmp_lt_i32_e32 vcc_lo, 5, v13
	v_lshl_or_b32 v2, v2, 9, 0x7c00
	s_delay_alu instid0(VALU_DEP_3)
	v_lshl_or_b32 v7, v7, 9, 0x7c00
	s_or_b32 vcc_lo, s0, vcc_lo
	s_wait_alu 0xfffe
	v_add_co_ci_u32_e32 v11, vcc_lo, 0, v11, vcc_lo
	s_or_b32 vcc_lo, s2, s1
	s_wait_alu 0xfffe
	v_add_co_ci_u32_e32 v5, vcc_lo, 0, v5, vcc_lo
	v_cmp_gt_i32_e32 vcc_lo, 31, v10
	s_wait_alu 0xfffd
	v_cndmask_b32_e32 v11, 0x7c00, v11, vcc_lo
	v_cmp_gt_i32_e32 vcc_lo, 31, v12
	s_wait_alu 0xfffd
	v_cndmask_b32_e32 v5, 0x7c00, v5, vcc_lo
	v_cmp_eq_u32_e32 vcc_lo, 0x40f, v10
	s_wait_alu 0xfffd
	v_cndmask_b32_e32 v2, v11, v2, vcc_lo
	v_cmp_eq_u32_e32 vcc_lo, 0x40f, v12
	s_delay_alu instid0(VALU_DEP_2)
	v_and_or_b32 v2, 0x8000, v6, v2
	s_wait_alu 0xfffd
	v_cndmask_b32_e32 v5, v5, v7, vcc_lo
	v_add_co_u32 v0, vcc_lo, v0, s4
	s_wait_alu 0xfffd
	v_add_co_ci_u32_e32 v1, vcc_lo, s5, v1, vcc_lo
	v_and_b32_e32 v2, 0xffff, v2
	v_and_or_b32 v5, 0x8000, v8, v5
	s_delay_alu instid0(VALU_DEP_1)
	v_lshl_or_b32 v2, v5, 16, v2
	v_lshrrev_b32_e32 v5, 16, v3
	global_store_b32 v[0:1], v2, off
	global_load_b32 v2, v43, s[8:9] offset:1320
	s_wait_loadcnt 0x0
	v_lshrrev_b32_e32 v6, 16, v2
	s_delay_alu instid0(VALU_DEP_1) | instskip(SKIP_1) | instid1(VALU_DEP_2)
	v_mul_f16_e32 v7, v5, v6
	v_mul_f16_e32 v6, v3, v6
	v_fmac_f16_e32 v7, v3, v2
	s_delay_alu instid0(VALU_DEP_2) | instskip(NEXT) | instid1(VALU_DEP_2)
	v_fma_f16 v2, v2, v5, -v6
	v_cvt_f32_f16_e32 v3, v7
	s_delay_alu instid0(VALU_DEP_2) | instskip(NEXT) | instid1(VALU_DEP_2)
	v_cvt_f32_f16_e32 v5, v2
	v_cvt_f64_f32_e32 v[2:3], v3
	s_delay_alu instid0(VALU_DEP_2) | instskip(NEXT) | instid1(VALU_DEP_2)
	v_cvt_f64_f32_e32 v[5:6], v5
	v_mul_f64_e32 v[2:3], s[10:11], v[2:3]
	s_delay_alu instid0(VALU_DEP_2) | instskip(NEXT) | instid1(VALU_DEP_2)
	v_mul_f64_e32 v[5:6], s[10:11], v[5:6]
	v_and_or_b32 v2, 0x1ff, v3, v2
	s_delay_alu instid0(VALU_DEP_2)
	v_and_or_b32 v5, 0x1ff, v6, v5
	v_lshrrev_b32_e32 v7, 8, v3
	v_bfe_u32 v8, v3, 20, 11
	v_lshrrev_b32_e32 v10, 8, v6
	v_cmp_ne_u32_e32 vcc_lo, 0, v2
	v_bfe_u32 v11, v6, 20, 11
	v_lshrrev_b32_e32 v3, 16, v3
	v_sub_nc_u32_e32 v12, 0x3f1, v8
	v_lshrrev_b32_e32 v6, 16, v6
	s_wait_alu 0xfffd
	v_cndmask_b32_e64 v2, 0, 1, vcc_lo
	v_cmp_ne_u32_e32 vcc_lo, 0, v5
	s_delay_alu instid0(VALU_DEP_2) | instskip(SKIP_4) | instid1(VALU_DEP_3)
	v_and_or_b32 v2, 0xffe, v7, v2
	s_wait_alu 0xfffd
	v_cndmask_b32_e64 v5, 0, 1, vcc_lo
	v_sub_nc_u32_e32 v7, 0x3f1, v11
	v_add_nc_u32_e32 v11, 0xfffffc10, v11
	v_and_or_b32 v5, 0xffe, v10, v5
	v_med3_i32 v10, v12, 0, 13
	v_or_b32_e32 v12, 0x1000, v2
	v_med3_i32 v7, v7, 0, 13
	s_delay_alu instid0(VALU_DEP_4) | instskip(NEXT) | instid1(VALU_DEP_3)
	v_or_b32_e32 v13, 0x1000, v5
	v_lshrrev_b32_e32 v14, v10, v12
	s_delay_alu instid0(VALU_DEP_2) | instskip(NEXT) | instid1(VALU_DEP_2)
	v_lshrrev_b32_e32 v15, v7, v13
	v_lshlrev_b32_e32 v10, v10, v14
	s_delay_alu instid0(VALU_DEP_2) | instskip(NEXT) | instid1(VALU_DEP_2)
	v_lshlrev_b32_e32 v7, v7, v15
	v_cmp_ne_u32_e32 vcc_lo, v10, v12
	s_wait_alu 0xfffd
	v_cndmask_b32_e64 v10, 0, 1, vcc_lo
	s_delay_alu instid0(VALU_DEP_3) | instskip(SKIP_1) | instid1(VALU_DEP_3)
	v_cmp_ne_u32_e32 vcc_lo, v7, v13
	v_lshl_or_b32 v13, v11, 12, v5
	v_or_b32_e32 v10, v14, v10
	s_wait_alu 0xfffd
	v_cndmask_b32_e64 v7, 0, 1, vcc_lo
	s_delay_alu instid0(VALU_DEP_1) | instskip(SKIP_1) | instid1(VALU_DEP_1)
	v_or_b32_e32 v7, v15, v7
	v_add_nc_u32_e32 v8, 0xfffffc10, v8
	v_lshl_or_b32 v12, v8, 12, v2
	v_cmp_gt_i32_e32 vcc_lo, 1, v8
	s_wait_alu 0xfffd
	s_delay_alu instid0(VALU_DEP_2) | instskip(SKIP_2) | instid1(VALU_DEP_2)
	v_cndmask_b32_e32 v10, v12, v10, vcc_lo
	v_cmp_gt_i32_e32 vcc_lo, 1, v11
	s_wait_alu 0xfffd
	v_dual_cndmask_b32 v7, v13, v7 :: v_dual_and_b32 v12, 7, v10
	v_cmp_ne_u32_e32 vcc_lo, 0, v2
	v_lshrrev_b32_e32 v10, 2, v10
	s_delay_alu instid0(VALU_DEP_3) | instskip(NEXT) | instid1(VALU_DEP_4)
	v_cmp_eq_u32_e64 s0, 3, v12
	v_and_b32_e32 v13, 7, v7
	s_wait_alu 0xfffd
	v_cndmask_b32_e64 v2, 0, 1, vcc_lo
	v_cmp_ne_u32_e32 vcc_lo, 0, v5
	v_lshrrev_b32_e32 v7, 2, v7
	v_cmp_lt_i32_e64 s1, 5, v13
	v_cmp_eq_u32_e64 s2, 3, v13
	s_wait_alu 0xfffd
	v_cndmask_b32_e64 v5, 0, 1, vcc_lo
	v_cmp_lt_i32_e32 vcc_lo, 5, v12
	v_lshl_or_b32 v2, v2, 9, 0x7c00
	s_delay_alu instid0(VALU_DEP_3)
	v_lshl_or_b32 v5, v5, 9, 0x7c00
	s_or_b32 vcc_lo, s0, vcc_lo
	s_wait_alu 0xfffe
	v_add_co_ci_u32_e32 v10, vcc_lo, 0, v10, vcc_lo
	s_or_b32 vcc_lo, s2, s1
	s_wait_alu 0xfffe
	v_add_co_ci_u32_e32 v7, vcc_lo, 0, v7, vcc_lo
	v_cmp_gt_i32_e32 vcc_lo, 31, v8
	s_wait_alu 0xfffd
	v_cndmask_b32_e32 v10, 0x7c00, v10, vcc_lo
	v_cmp_gt_i32_e32 vcc_lo, 31, v11
	s_wait_alu 0xfffd
	v_cndmask_b32_e32 v7, 0x7c00, v7, vcc_lo
	v_cmp_eq_u32_e32 vcc_lo, 0x40f, v8
	s_wait_alu 0xfffd
	v_cndmask_b32_e32 v2, v10, v2, vcc_lo
	v_cmp_eq_u32_e32 vcc_lo, 0x40f, v11
	s_delay_alu instid0(VALU_DEP_2)
	v_and_or_b32 v2, 0x8000, v3, v2
	s_wait_alu 0xfffd
	v_cndmask_b32_e32 v5, v7, v5, vcc_lo
	v_add_co_u32 v0, vcc_lo, v0, s4
	s_wait_alu 0xfffd
	v_add_co_ci_u32_e32 v1, vcc_lo, s5, v1, vcc_lo
	v_and_b32_e32 v2, 0xffff, v2
	v_and_or_b32 v3, 0x8000, v6, v5
	s_delay_alu instid0(VALU_DEP_1)
	v_lshl_or_b32 v2, v3, 16, v2
	global_store_b32 v[0:1], v2, off
	global_load_b32 v5, v43, s[8:9] offset:1540
	ds_load_2addr_b32 v[2:3], v9 offset0:129 offset1:184
	s_wait_dscnt 0x0
	v_lshrrev_b32_e32 v6, 16, v2
	s_wait_loadcnt 0x0
	v_lshrrev_b32_e32 v7, 16, v5
	s_delay_alu instid0(VALU_DEP_1) | instskip(SKIP_1) | instid1(VALU_DEP_2)
	v_mul_f16_e32 v8, v6, v7
	v_mul_f16_e32 v7, v2, v7
	v_fmac_f16_e32 v8, v2, v5
	s_delay_alu instid0(VALU_DEP_2) | instskip(NEXT) | instid1(VALU_DEP_2)
	v_fma_f16 v2, v5, v6, -v7
	v_cvt_f32_f16_e32 v5, v8
	s_delay_alu instid0(VALU_DEP_2) | instskip(NEXT) | instid1(VALU_DEP_2)
	v_cvt_f32_f16_e32 v2, v2
	v_cvt_f64_f32_e32 v[5:6], v5
	s_delay_alu instid0(VALU_DEP_2) | instskip(NEXT) | instid1(VALU_DEP_2)
	v_cvt_f64_f32_e32 v[7:8], v2
	v_mul_f64_e32 v[5:6], s[10:11], v[5:6]
	s_delay_alu instid0(VALU_DEP_2) | instskip(NEXT) | instid1(VALU_DEP_2)
	v_mul_f64_e32 v[7:8], s[10:11], v[7:8]
	v_and_or_b32 v2, 0x1ff, v6, v5
	s_delay_alu instid0(VALU_DEP_2)
	v_and_or_b32 v7, 0x1ff, v8, v7
	v_lshrrev_b32_e32 v5, 8, v6
	v_bfe_u32 v9, v6, 20, 11
	v_lshrrev_b32_e32 v10, 8, v8
	v_cmp_ne_u32_e32 vcc_lo, 0, v2
	v_bfe_u32 v11, v8, 20, 11
	v_lshrrev_b32_e32 v6, 16, v6
	v_sub_nc_u32_e32 v12, 0x3f1, v9
	v_add_nc_u32_e32 v9, 0xfffffc10, v9
	s_wait_alu 0xfffd
	v_cndmask_b32_e64 v2, 0, 1, vcc_lo
	v_cmp_ne_u32_e32 vcc_lo, 0, v7
	v_lshrrev_b32_e32 v8, 16, v8
	s_delay_alu instid0(VALU_DEP_3) | instskip(SKIP_4) | instid1(VALU_DEP_3)
	v_and_or_b32 v2, 0xffe, v5, v2
	s_wait_alu 0xfffd
	v_cndmask_b32_e64 v7, 0, 1, vcc_lo
	v_sub_nc_u32_e32 v5, 0x3f1, v11
	v_add_nc_u32_e32 v11, 0xfffffc10, v11
	v_and_or_b32 v7, 0xffe, v10, v7
	v_med3_i32 v10, v12, 0, 13
	v_or_b32_e32 v12, 0x1000, v2
	v_med3_i32 v5, v5, 0, 13
	s_delay_alu instid0(VALU_DEP_4) | instskip(NEXT) | instid1(VALU_DEP_3)
	v_or_b32_e32 v13, 0x1000, v7
	v_lshrrev_b32_e32 v14, v10, v12
	s_delay_alu instid0(VALU_DEP_2) | instskip(NEXT) | instid1(VALU_DEP_2)
	v_lshrrev_b32_e32 v15, v5, v13
	v_lshlrev_b32_e32 v10, v10, v14
	s_delay_alu instid0(VALU_DEP_2) | instskip(NEXT) | instid1(VALU_DEP_2)
	v_lshlrev_b32_e32 v5, v5, v15
	v_cmp_ne_u32_e32 vcc_lo, v10, v12
	v_lshl_or_b32 v12, v9, 12, v2
	s_wait_alu 0xfffd
	v_cndmask_b32_e64 v10, 0, 1, vcc_lo
	v_cmp_ne_u32_e32 vcc_lo, v5, v13
	v_lshl_or_b32 v13, v11, 12, v7
	s_delay_alu instid0(VALU_DEP_3) | instskip(SKIP_3) | instid1(VALU_DEP_2)
	v_or_b32_e32 v10, v14, v10
	s_wait_alu 0xfffd
	v_cndmask_b32_e64 v5, 0, 1, vcc_lo
	v_cmp_gt_i32_e32 vcc_lo, 1, v9
	v_or_b32_e32 v5, v15, v5
	s_wait_alu 0xfffd
	v_cndmask_b32_e32 v10, v12, v10, vcc_lo
	v_cmp_gt_i32_e32 vcc_lo, 1, v11
	s_wait_alu 0xfffd
	s_delay_alu instid0(VALU_DEP_2) | instskip(SKIP_2) | instid1(VALU_DEP_3)
	v_dual_cndmask_b32 v5, v13, v5 :: v_dual_and_b32 v12, 7, v10
	v_cmp_ne_u32_e32 vcc_lo, 0, v2
	v_lshrrev_b32_e32 v10, 2, v10
	v_cmp_eq_u32_e64 s0, 3, v12
	s_delay_alu instid0(VALU_DEP_4)
	v_and_b32_e32 v13, 7, v5
	s_wait_alu 0xfffd
	v_cndmask_b32_e64 v2, 0, 1, vcc_lo
	v_cmp_ne_u32_e32 vcc_lo, 0, v7
	v_lshrrev_b32_e32 v5, 2, v5
	v_cmp_lt_i32_e64 s1, 5, v13
	v_cmp_eq_u32_e64 s2, 3, v13
	s_wait_alu 0xfffd
	v_cndmask_b32_e64 v7, 0, 1, vcc_lo
	v_cmp_lt_i32_e32 vcc_lo, 5, v12
	v_lshl_or_b32 v2, v2, 9, 0x7c00
	s_delay_alu instid0(VALU_DEP_3)
	v_lshl_or_b32 v7, v7, 9, 0x7c00
	s_or_b32 vcc_lo, s0, vcc_lo
	s_wait_alu 0xfffe
	v_add_co_ci_u32_e32 v10, vcc_lo, 0, v10, vcc_lo
	s_or_b32 vcc_lo, s2, s1
	s_wait_alu 0xfffe
	v_add_co_ci_u32_e32 v5, vcc_lo, 0, v5, vcc_lo
	v_cmp_gt_i32_e32 vcc_lo, 31, v9
	s_wait_alu 0xfffd
	v_cndmask_b32_e32 v10, 0x7c00, v10, vcc_lo
	v_cmp_gt_i32_e32 vcc_lo, 31, v11
	s_wait_alu 0xfffd
	v_cndmask_b32_e32 v5, 0x7c00, v5, vcc_lo
	v_cmp_eq_u32_e32 vcc_lo, 0x40f, v9
	s_wait_alu 0xfffd
	v_cndmask_b32_e32 v2, v10, v2, vcc_lo
	v_cmp_eq_u32_e32 vcc_lo, 0x40f, v11
	s_delay_alu instid0(VALU_DEP_2)
	v_and_or_b32 v2, 0x8000, v6, v2
	s_wait_alu 0xfffd
	v_cndmask_b32_e32 v5, v5, v7, vcc_lo
	v_add_co_u32 v0, vcc_lo, v0, s4
	s_wait_alu 0xfffd
	v_add_co_ci_u32_e32 v1, vcc_lo, s5, v1, vcc_lo
	v_and_b32_e32 v2, 0xffff, v2
	v_and_or_b32 v5, 0x8000, v8, v5
	s_delay_alu instid0(VALU_DEP_1)
	v_lshl_or_b32 v2, v5, 16, v2
	v_lshrrev_b32_e32 v5, 16, v3
	global_store_b32 v[0:1], v2, off
	global_load_b32 v2, v43, s[8:9] offset:1760
	s_wait_loadcnt 0x0
	v_lshrrev_b32_e32 v6, 16, v2
	s_delay_alu instid0(VALU_DEP_1) | instskip(SKIP_1) | instid1(VALU_DEP_2)
	v_mul_f16_e32 v7, v5, v6
	v_mul_f16_e32 v6, v3, v6
	v_fmac_f16_e32 v7, v3, v2
	s_delay_alu instid0(VALU_DEP_2) | instskip(NEXT) | instid1(VALU_DEP_2)
	v_fma_f16 v2, v2, v5, -v6
	v_cvt_f32_f16_e32 v3, v7
	s_delay_alu instid0(VALU_DEP_2) | instskip(NEXT) | instid1(VALU_DEP_2)
	v_cvt_f32_f16_e32 v5, v2
	v_cvt_f64_f32_e32 v[2:3], v3
	s_delay_alu instid0(VALU_DEP_2) | instskip(NEXT) | instid1(VALU_DEP_2)
	v_cvt_f64_f32_e32 v[5:6], v5
	v_mul_f64_e32 v[2:3], s[10:11], v[2:3]
	s_delay_alu instid0(VALU_DEP_2) | instskip(NEXT) | instid1(VALU_DEP_2)
	v_mul_f64_e32 v[5:6], s[10:11], v[5:6]
	v_and_or_b32 v2, 0x1ff, v3, v2
	s_delay_alu instid0(VALU_DEP_2)
	v_and_or_b32 v5, 0x1ff, v6, v5
	v_lshrrev_b32_e32 v7, 8, v3
	v_bfe_u32 v8, v3, 20, 11
	v_lshrrev_b32_e32 v9, 8, v6
	v_cmp_ne_u32_e32 vcc_lo, 0, v2
	v_bfe_u32 v10, v6, 20, 11
	v_lshrrev_b32_e32 v3, 16, v3
	v_sub_nc_u32_e32 v11, 0x3f1, v8
	v_lshrrev_b32_e32 v6, 16, v6
	s_wait_alu 0xfffd
	v_cndmask_b32_e64 v2, 0, 1, vcc_lo
	v_cmp_ne_u32_e32 vcc_lo, 0, v5
	s_delay_alu instid0(VALU_DEP_2) | instskip(SKIP_3) | instid1(VALU_DEP_2)
	v_and_or_b32 v2, 0xffe, v7, v2
	s_wait_alu 0xfffd
	v_cndmask_b32_e64 v5, 0, 1, vcc_lo
	v_sub_nc_u32_e32 v7, 0x3f1, v10
	v_and_or_b32 v5, 0xffe, v9, v5
	v_med3_i32 v9, v11, 0, 13
	v_or_b32_e32 v11, 0x1000, v2
	s_delay_alu instid0(VALU_DEP_4) | instskip(NEXT) | instid1(VALU_DEP_4)
	v_med3_i32 v7, v7, 0, 13
	v_or_b32_e32 v12, 0x1000, v5
	s_delay_alu instid0(VALU_DEP_3) | instskip(NEXT) | instid1(VALU_DEP_2)
	v_lshrrev_b32_e32 v13, v9, v11
	v_lshrrev_b32_e32 v14, v7, v12
	s_delay_alu instid0(VALU_DEP_2) | instskip(NEXT) | instid1(VALU_DEP_2)
	v_lshlrev_b32_e32 v9, v9, v13
	v_lshlrev_b32_e32 v7, v7, v14
	s_delay_alu instid0(VALU_DEP_2) | instskip(SKIP_2) | instid1(VALU_DEP_3)
	v_cmp_ne_u32_e32 vcc_lo, v9, v11
	s_wait_alu 0xfffd
	v_cndmask_b32_e64 v9, 0, 1, vcc_lo
	v_cmp_ne_u32_e32 vcc_lo, v7, v12
	s_delay_alu instid0(VALU_DEP_2) | instskip(SKIP_3) | instid1(VALU_DEP_2)
	v_or_b32_e32 v9, v13, v9
	v_add_nc_u32_e32 v8, 0xfffffc10, v8
	s_wait_alu 0xfffd
	v_cndmask_b32_e64 v7, 0, 1, vcc_lo
	v_lshl_or_b32 v11, v8, 12, v2
	s_delay_alu instid0(VALU_DEP_2) | instskip(SKIP_2) | instid1(VALU_DEP_2)
	v_or_b32_e32 v7, v14, v7
	v_add_nc_u32_e32 v10, 0xfffffc10, v10
	v_cmp_gt_i32_e32 vcc_lo, 1, v8
	v_lshl_or_b32 v12, v10, 12, v5
	s_wait_alu 0xfffd
	v_cndmask_b32_e32 v9, v11, v9, vcc_lo
	v_cmp_gt_i32_e32 vcc_lo, 1, v10
	s_delay_alu instid0(VALU_DEP_2)
	v_and_b32_e32 v11, 7, v9
	s_wait_alu 0xfffd
	v_cndmask_b32_e32 v7, v12, v7, vcc_lo
	v_cmp_ne_u32_e32 vcc_lo, 0, v2
	v_lshrrev_b32_e32 v9, 2, v9
	v_cmp_eq_u32_e64 s0, 3, v11
	s_delay_alu instid0(VALU_DEP_4)
	v_and_b32_e32 v12, 7, v7
	s_wait_alu 0xfffd
	v_cndmask_b32_e64 v2, 0, 1, vcc_lo
	v_cmp_ne_u32_e32 vcc_lo, 0, v5
	v_lshrrev_b32_e32 v7, 2, v7
	v_cmp_lt_i32_e64 s1, 5, v12
	v_cmp_eq_u32_e64 s2, 3, v12
	s_wait_alu 0xfffd
	v_cndmask_b32_e64 v5, 0, 1, vcc_lo
	v_cmp_lt_i32_e32 vcc_lo, 5, v11
	v_lshl_or_b32 v2, v2, 9, 0x7c00
	s_delay_alu instid0(VALU_DEP_3)
	v_lshl_or_b32 v5, v5, 9, 0x7c00
	s_or_b32 vcc_lo, s0, vcc_lo
	s_wait_alu 0xfffe
	v_add_co_ci_u32_e32 v9, vcc_lo, 0, v9, vcc_lo
	s_or_b32 vcc_lo, s2, s1
	s_wait_alu 0xfffe
	v_add_co_ci_u32_e32 v7, vcc_lo, 0, v7, vcc_lo
	v_cmp_gt_i32_e32 vcc_lo, 31, v8
	s_wait_alu 0xfffd
	v_cndmask_b32_e32 v9, 0x7c00, v9, vcc_lo
	v_cmp_gt_i32_e32 vcc_lo, 31, v10
	s_wait_alu 0xfffd
	v_cndmask_b32_e32 v7, 0x7c00, v7, vcc_lo
	v_cmp_eq_u32_e32 vcc_lo, 0x40f, v8
	s_wait_alu 0xfffd
	v_cndmask_b32_e32 v2, v9, v2, vcc_lo
	v_cmp_eq_u32_e32 vcc_lo, 0x40f, v10
	s_delay_alu instid0(VALU_DEP_2)
	v_and_or_b32 v2, 0x8000, v3, v2
	s_wait_alu 0xfffd
	v_cndmask_b32_e32 v5, v7, v5, vcc_lo
	v_add_co_u32 v0, vcc_lo, v0, s4
	s_wait_alu 0xfffd
	v_add_co_ci_u32_e32 v1, vcc_lo, s5, v1, vcc_lo
	v_and_b32_e32 v2, 0xffff, v2
	v_and_or_b32 v3, 0x8000, v6, v5
	s_delay_alu instid0(VALU_DEP_1)
	v_lshl_or_b32 v2, v3, 16, v2
	global_store_b32 v[0:1], v2, off
	global_load_b32 v5, v43, s[8:9] offset:1980
	v_add_nc_u32_e32 v2, 0x600, v4
	ds_load_2addr_b32 v[2:3], v2 offset0:111 offset1:166
	s_wait_dscnt 0x0
	v_lshrrev_b32_e32 v6, 16, v2
	s_wait_loadcnt 0x0
	v_lshrrev_b32_e32 v7, 16, v5
	s_delay_alu instid0(VALU_DEP_1) | instskip(SKIP_1) | instid1(VALU_DEP_2)
	v_mul_f16_e32 v8, v6, v7
	v_mul_f16_e32 v7, v2, v7
	v_fmac_f16_e32 v8, v2, v5
	s_delay_alu instid0(VALU_DEP_2) | instskip(NEXT) | instid1(VALU_DEP_2)
	v_fma_f16 v2, v5, v6, -v7
	v_cvt_f32_f16_e32 v5, v8
	s_delay_alu instid0(VALU_DEP_2) | instskip(NEXT) | instid1(VALU_DEP_2)
	v_cvt_f32_f16_e32 v2, v2
	v_cvt_f64_f32_e32 v[5:6], v5
	s_delay_alu instid0(VALU_DEP_2) | instskip(NEXT) | instid1(VALU_DEP_2)
	v_cvt_f64_f32_e32 v[7:8], v2
	v_mul_f64_e32 v[5:6], s[10:11], v[5:6]
	s_delay_alu instid0(VALU_DEP_2) | instskip(NEXT) | instid1(VALU_DEP_2)
	v_mul_f64_e32 v[7:8], s[10:11], v[7:8]
	v_and_or_b32 v2, 0x1ff, v6, v5
	s_delay_alu instid0(VALU_DEP_2)
	v_and_or_b32 v7, 0x1ff, v8, v7
	v_lshrrev_b32_e32 v5, 8, v6
	v_bfe_u32 v9, v6, 20, 11
	v_lshrrev_b32_e32 v10, 8, v8
	v_cmp_ne_u32_e32 vcc_lo, 0, v2
	v_bfe_u32 v11, v8, 20, 11
	v_lshrrev_b32_e32 v6, 16, v6
	v_sub_nc_u32_e32 v12, 0x3f1, v9
	v_add_nc_u32_e32 v9, 0xfffffc10, v9
	s_wait_alu 0xfffd
	v_cndmask_b32_e64 v2, 0, 1, vcc_lo
	v_cmp_ne_u32_e32 vcc_lo, 0, v7
	v_lshrrev_b32_e32 v8, 16, v8
	s_delay_alu instid0(VALU_DEP_3) | instskip(SKIP_4) | instid1(VALU_DEP_3)
	v_and_or_b32 v2, 0xffe, v5, v2
	s_wait_alu 0xfffd
	v_cndmask_b32_e64 v7, 0, 1, vcc_lo
	v_sub_nc_u32_e32 v5, 0x3f1, v11
	v_add_nc_u32_e32 v11, 0xfffffc10, v11
	v_and_or_b32 v7, 0xffe, v10, v7
	v_med3_i32 v10, v12, 0, 13
	v_or_b32_e32 v12, 0x1000, v2
	v_med3_i32 v5, v5, 0, 13
	s_delay_alu instid0(VALU_DEP_4) | instskip(NEXT) | instid1(VALU_DEP_3)
	v_or_b32_e32 v13, 0x1000, v7
	v_lshrrev_b32_e32 v14, v10, v12
	s_delay_alu instid0(VALU_DEP_2) | instskip(NEXT) | instid1(VALU_DEP_2)
	v_lshrrev_b32_e32 v15, v5, v13
	v_lshlrev_b32_e32 v10, v10, v14
	s_delay_alu instid0(VALU_DEP_2) | instskip(NEXT) | instid1(VALU_DEP_2)
	v_lshlrev_b32_e32 v5, v5, v15
	v_cmp_ne_u32_e32 vcc_lo, v10, v12
	v_lshl_or_b32 v12, v9, 12, v2
	s_wait_alu 0xfffd
	v_cndmask_b32_e64 v10, 0, 1, vcc_lo
	v_cmp_ne_u32_e32 vcc_lo, v5, v13
	v_lshl_or_b32 v13, v11, 12, v7
	s_delay_alu instid0(VALU_DEP_3) | instskip(SKIP_3) | instid1(VALU_DEP_2)
	v_or_b32_e32 v10, v14, v10
	s_wait_alu 0xfffd
	v_cndmask_b32_e64 v5, 0, 1, vcc_lo
	v_cmp_gt_i32_e32 vcc_lo, 1, v9
	v_or_b32_e32 v5, v15, v5
	s_wait_alu 0xfffd
	v_cndmask_b32_e32 v10, v12, v10, vcc_lo
	v_cmp_gt_i32_e32 vcc_lo, 1, v11
	s_wait_alu 0xfffd
	s_delay_alu instid0(VALU_DEP_2) | instskip(SKIP_2) | instid1(VALU_DEP_3)
	v_dual_cndmask_b32 v5, v13, v5 :: v_dual_and_b32 v12, 7, v10
	v_cmp_ne_u32_e32 vcc_lo, 0, v2
	v_lshrrev_b32_e32 v10, 2, v10
	v_cmp_eq_u32_e64 s0, 3, v12
	s_delay_alu instid0(VALU_DEP_4)
	v_and_b32_e32 v13, 7, v5
	s_wait_alu 0xfffd
	v_cndmask_b32_e64 v2, 0, 1, vcc_lo
	v_cmp_ne_u32_e32 vcc_lo, 0, v7
	v_lshrrev_b32_e32 v5, 2, v5
	v_cmp_lt_i32_e64 s1, 5, v13
	v_cmp_eq_u32_e64 s2, 3, v13
	s_wait_alu 0xfffd
	v_cndmask_b32_e64 v7, 0, 1, vcc_lo
	v_cmp_lt_i32_e32 vcc_lo, 5, v12
	v_lshl_or_b32 v2, v2, 9, 0x7c00
	s_delay_alu instid0(VALU_DEP_3)
	v_lshl_or_b32 v7, v7, 9, 0x7c00
	s_or_b32 vcc_lo, s0, vcc_lo
	s_wait_alu 0xfffe
	v_add_co_ci_u32_e32 v10, vcc_lo, 0, v10, vcc_lo
	s_or_b32 vcc_lo, s2, s1
	s_wait_alu 0xfffe
	v_add_co_ci_u32_e32 v5, vcc_lo, 0, v5, vcc_lo
	v_cmp_gt_i32_e32 vcc_lo, 31, v9
	s_wait_alu 0xfffd
	v_cndmask_b32_e32 v10, 0x7c00, v10, vcc_lo
	v_cmp_gt_i32_e32 vcc_lo, 31, v11
	s_wait_alu 0xfffd
	v_cndmask_b32_e32 v5, 0x7c00, v5, vcc_lo
	v_cmp_eq_u32_e32 vcc_lo, 0x40f, v9
	s_wait_alu 0xfffd
	v_cndmask_b32_e32 v2, v10, v2, vcc_lo
	v_cmp_eq_u32_e32 vcc_lo, 0x40f, v11
	s_delay_alu instid0(VALU_DEP_2)
	v_and_or_b32 v2, 0x8000, v6, v2
	s_wait_alu 0xfffd
	v_cndmask_b32_e32 v5, v5, v7, vcc_lo
	v_add_co_u32 v0, vcc_lo, v0, s4
	s_wait_alu 0xfffd
	v_add_co_ci_u32_e32 v1, vcc_lo, s5, v1, vcc_lo
	v_and_b32_e32 v2, 0xffff, v2
	v_and_or_b32 v5, 0x8000, v8, v5
	s_delay_alu instid0(VALU_DEP_1)
	v_lshl_or_b32 v2, v5, 16, v2
	v_lshrrev_b32_e32 v5, 16, v3
	global_store_b32 v[0:1], v2, off
	global_load_b32 v2, v43, s[8:9] offset:2200
	s_wait_loadcnt 0x0
	v_lshrrev_b32_e32 v6, 16, v2
	s_delay_alu instid0(VALU_DEP_1) | instskip(SKIP_1) | instid1(VALU_DEP_2)
	v_mul_f16_e32 v7, v5, v6
	v_mul_f16_e32 v6, v3, v6
	v_fmac_f16_e32 v7, v3, v2
	s_delay_alu instid0(VALU_DEP_2) | instskip(NEXT) | instid1(VALU_DEP_2)
	v_fma_f16 v2, v2, v5, -v6
	v_cvt_f32_f16_e32 v3, v7
	s_delay_alu instid0(VALU_DEP_2) | instskip(NEXT) | instid1(VALU_DEP_2)
	v_cvt_f32_f16_e32 v5, v2
	v_cvt_f64_f32_e32 v[2:3], v3
	s_delay_alu instid0(VALU_DEP_2) | instskip(NEXT) | instid1(VALU_DEP_2)
	v_cvt_f64_f32_e32 v[5:6], v5
	v_mul_f64_e32 v[2:3], s[10:11], v[2:3]
	s_delay_alu instid0(VALU_DEP_2) | instskip(NEXT) | instid1(VALU_DEP_2)
	v_mul_f64_e32 v[5:6], s[10:11], v[5:6]
	v_and_or_b32 v2, 0x1ff, v3, v2
	s_delay_alu instid0(VALU_DEP_2)
	v_and_or_b32 v5, 0x1ff, v6, v5
	v_lshrrev_b32_e32 v7, 8, v3
	v_bfe_u32 v8, v3, 20, 11
	v_lshrrev_b32_e32 v9, 8, v6
	v_cmp_ne_u32_e32 vcc_lo, 0, v2
	v_bfe_u32 v10, v6, 20, 11
	v_lshrrev_b32_e32 v3, 16, v3
	v_sub_nc_u32_e32 v11, 0x3f1, v8
	v_lshrrev_b32_e32 v6, 16, v6
	s_wait_alu 0xfffd
	v_cndmask_b32_e64 v2, 0, 1, vcc_lo
	v_cmp_ne_u32_e32 vcc_lo, 0, v5
	s_delay_alu instid0(VALU_DEP_2) | instskip(SKIP_3) | instid1(VALU_DEP_2)
	v_and_or_b32 v2, 0xffe, v7, v2
	s_wait_alu 0xfffd
	v_cndmask_b32_e64 v5, 0, 1, vcc_lo
	v_sub_nc_u32_e32 v7, 0x3f1, v10
	v_and_or_b32 v5, 0xffe, v9, v5
	v_med3_i32 v9, v11, 0, 13
	v_or_b32_e32 v11, 0x1000, v2
	s_delay_alu instid0(VALU_DEP_4) | instskip(NEXT) | instid1(VALU_DEP_4)
	v_med3_i32 v7, v7, 0, 13
	v_or_b32_e32 v12, 0x1000, v5
	s_delay_alu instid0(VALU_DEP_3) | instskip(NEXT) | instid1(VALU_DEP_2)
	v_lshrrev_b32_e32 v13, v9, v11
	v_lshrrev_b32_e32 v14, v7, v12
	s_delay_alu instid0(VALU_DEP_2) | instskip(NEXT) | instid1(VALU_DEP_2)
	v_lshlrev_b32_e32 v9, v9, v13
	v_lshlrev_b32_e32 v7, v7, v14
	s_delay_alu instid0(VALU_DEP_2) | instskip(SKIP_2) | instid1(VALU_DEP_3)
	v_cmp_ne_u32_e32 vcc_lo, v9, v11
	s_wait_alu 0xfffd
	v_cndmask_b32_e64 v9, 0, 1, vcc_lo
	v_cmp_ne_u32_e32 vcc_lo, v7, v12
	s_delay_alu instid0(VALU_DEP_2) | instskip(SKIP_3) | instid1(VALU_DEP_2)
	v_or_b32_e32 v9, v13, v9
	v_add_nc_u32_e32 v8, 0xfffffc10, v8
	s_wait_alu 0xfffd
	v_cndmask_b32_e64 v7, 0, 1, vcc_lo
	v_lshl_or_b32 v11, v8, 12, v2
	s_delay_alu instid0(VALU_DEP_2) | instskip(SKIP_2) | instid1(VALU_DEP_2)
	v_or_b32_e32 v7, v14, v7
	v_add_nc_u32_e32 v10, 0xfffffc10, v10
	v_cmp_gt_i32_e32 vcc_lo, 1, v8
	v_lshl_or_b32 v12, v10, 12, v5
	s_wait_alu 0xfffd
	v_cndmask_b32_e32 v9, v11, v9, vcc_lo
	v_cmp_gt_i32_e32 vcc_lo, 1, v10
	s_delay_alu instid0(VALU_DEP_2)
	v_and_b32_e32 v11, 7, v9
	s_wait_alu 0xfffd
	v_cndmask_b32_e32 v7, v12, v7, vcc_lo
	v_cmp_ne_u32_e32 vcc_lo, 0, v2
	v_lshrrev_b32_e32 v9, 2, v9
	v_cmp_eq_u32_e64 s0, 3, v11
	s_delay_alu instid0(VALU_DEP_4)
	v_and_b32_e32 v12, 7, v7
	s_wait_alu 0xfffd
	v_cndmask_b32_e64 v2, 0, 1, vcc_lo
	v_cmp_ne_u32_e32 vcc_lo, 0, v5
	v_lshrrev_b32_e32 v7, 2, v7
	v_cmp_lt_i32_e64 s1, 5, v12
	v_cmp_eq_u32_e64 s2, 3, v12
	s_wait_alu 0xfffd
	v_cndmask_b32_e64 v5, 0, 1, vcc_lo
	v_cmp_lt_i32_e32 vcc_lo, 5, v11
	v_lshl_or_b32 v2, v2, 9, 0x7c00
	s_delay_alu instid0(VALU_DEP_3)
	v_lshl_or_b32 v5, v5, 9, 0x7c00
	s_or_b32 vcc_lo, s0, vcc_lo
	s_wait_alu 0xfffe
	v_add_co_ci_u32_e32 v9, vcc_lo, 0, v9, vcc_lo
	s_or_b32 vcc_lo, s2, s1
	s_wait_alu 0xfffe
	v_add_co_ci_u32_e32 v7, vcc_lo, 0, v7, vcc_lo
	v_cmp_gt_i32_e32 vcc_lo, 31, v8
	s_wait_alu 0xfffd
	v_cndmask_b32_e32 v9, 0x7c00, v9, vcc_lo
	v_cmp_gt_i32_e32 vcc_lo, 31, v10
	s_wait_alu 0xfffd
	v_cndmask_b32_e32 v7, 0x7c00, v7, vcc_lo
	v_cmp_eq_u32_e32 vcc_lo, 0x40f, v8
	s_wait_alu 0xfffd
	v_cndmask_b32_e32 v2, v9, v2, vcc_lo
	v_cmp_eq_u32_e32 vcc_lo, 0x40f, v10
	s_delay_alu instid0(VALU_DEP_2)
	v_and_or_b32 v2, 0x8000, v3, v2
	s_wait_alu 0xfffd
	v_cndmask_b32_e32 v5, v7, v5, vcc_lo
	v_add_co_u32 v0, vcc_lo, v0, s4
	s_wait_alu 0xfffd
	v_add_co_ci_u32_e32 v1, vcc_lo, s5, v1, vcc_lo
	v_and_b32_e32 v2, 0xffff, v2
	v_and_or_b32 v3, 0x8000, v6, v5
	s_delay_alu instid0(VALU_DEP_1)
	v_lshl_or_b32 v2, v3, 16, v2
	global_store_b32 v[0:1], v2, off
	global_load_b32 v5, v43, s[8:9] offset:2420
	v_add_nc_u32_e32 v2, 0x800, v4
	ds_load_2addr_b32 v[2:3], v2 offset0:93 offset1:148
	s_wait_dscnt 0x0
	v_lshrrev_b32_e32 v6, 16, v2
	s_wait_loadcnt 0x0
	v_lshrrev_b32_e32 v7, 16, v5
	s_delay_alu instid0(VALU_DEP_1) | instskip(SKIP_1) | instid1(VALU_DEP_2)
	v_mul_f16_e32 v8, v6, v7
	v_mul_f16_e32 v7, v2, v7
	v_fmac_f16_e32 v8, v2, v5
	s_delay_alu instid0(VALU_DEP_2) | instskip(NEXT) | instid1(VALU_DEP_2)
	v_fma_f16 v2, v5, v6, -v7
	v_cvt_f32_f16_e32 v5, v8
	s_delay_alu instid0(VALU_DEP_2) | instskip(NEXT) | instid1(VALU_DEP_2)
	v_cvt_f32_f16_e32 v2, v2
	v_cvt_f64_f32_e32 v[5:6], v5
	s_delay_alu instid0(VALU_DEP_2) | instskip(NEXT) | instid1(VALU_DEP_2)
	v_cvt_f64_f32_e32 v[7:8], v2
	v_mul_f64_e32 v[5:6], s[10:11], v[5:6]
	s_delay_alu instid0(VALU_DEP_2) | instskip(NEXT) | instid1(VALU_DEP_2)
	v_mul_f64_e32 v[7:8], s[10:11], v[7:8]
	v_and_or_b32 v2, 0x1ff, v6, v5
	s_delay_alu instid0(VALU_DEP_2)
	v_and_or_b32 v7, 0x1ff, v8, v7
	v_lshrrev_b32_e32 v5, 8, v6
	v_bfe_u32 v9, v6, 20, 11
	v_lshrrev_b32_e32 v10, 8, v8
	v_cmp_ne_u32_e32 vcc_lo, 0, v2
	v_bfe_u32 v11, v8, 20, 11
	v_lshrrev_b32_e32 v6, 16, v6
	v_sub_nc_u32_e32 v12, 0x3f1, v9
	v_add_nc_u32_e32 v9, 0xfffffc10, v9
	s_wait_alu 0xfffd
	v_cndmask_b32_e64 v2, 0, 1, vcc_lo
	v_cmp_ne_u32_e32 vcc_lo, 0, v7
	v_lshrrev_b32_e32 v8, 16, v8
	s_delay_alu instid0(VALU_DEP_3) | instskip(SKIP_4) | instid1(VALU_DEP_3)
	v_and_or_b32 v2, 0xffe, v5, v2
	s_wait_alu 0xfffd
	v_cndmask_b32_e64 v7, 0, 1, vcc_lo
	v_sub_nc_u32_e32 v5, 0x3f1, v11
	v_add_nc_u32_e32 v11, 0xfffffc10, v11
	v_and_or_b32 v7, 0xffe, v10, v7
	v_med3_i32 v10, v12, 0, 13
	v_or_b32_e32 v12, 0x1000, v2
	v_med3_i32 v5, v5, 0, 13
	s_delay_alu instid0(VALU_DEP_4) | instskip(NEXT) | instid1(VALU_DEP_3)
	v_or_b32_e32 v13, 0x1000, v7
	v_lshrrev_b32_e32 v14, v10, v12
	s_delay_alu instid0(VALU_DEP_2) | instskip(NEXT) | instid1(VALU_DEP_2)
	v_lshrrev_b32_e32 v15, v5, v13
	v_lshlrev_b32_e32 v10, v10, v14
	s_delay_alu instid0(VALU_DEP_2) | instskip(NEXT) | instid1(VALU_DEP_2)
	v_lshlrev_b32_e32 v5, v5, v15
	v_cmp_ne_u32_e32 vcc_lo, v10, v12
	v_lshl_or_b32 v12, v9, 12, v2
	s_wait_alu 0xfffd
	v_cndmask_b32_e64 v10, 0, 1, vcc_lo
	v_cmp_ne_u32_e32 vcc_lo, v5, v13
	v_lshl_or_b32 v13, v11, 12, v7
	s_delay_alu instid0(VALU_DEP_3) | instskip(SKIP_3) | instid1(VALU_DEP_2)
	v_or_b32_e32 v10, v14, v10
	s_wait_alu 0xfffd
	v_cndmask_b32_e64 v5, 0, 1, vcc_lo
	v_cmp_gt_i32_e32 vcc_lo, 1, v9
	v_or_b32_e32 v5, v15, v5
	s_wait_alu 0xfffd
	v_cndmask_b32_e32 v10, v12, v10, vcc_lo
	v_cmp_gt_i32_e32 vcc_lo, 1, v11
	s_wait_alu 0xfffd
	s_delay_alu instid0(VALU_DEP_2) | instskip(SKIP_2) | instid1(VALU_DEP_3)
	v_dual_cndmask_b32 v5, v13, v5 :: v_dual_and_b32 v12, 7, v10
	v_cmp_ne_u32_e32 vcc_lo, 0, v2
	v_lshrrev_b32_e32 v10, 2, v10
	v_cmp_eq_u32_e64 s0, 3, v12
	s_delay_alu instid0(VALU_DEP_4)
	v_and_b32_e32 v13, 7, v5
	s_wait_alu 0xfffd
	v_cndmask_b32_e64 v2, 0, 1, vcc_lo
	v_cmp_ne_u32_e32 vcc_lo, 0, v7
	v_lshrrev_b32_e32 v5, 2, v5
	v_cmp_lt_i32_e64 s1, 5, v13
	v_cmp_eq_u32_e64 s2, 3, v13
	s_wait_alu 0xfffd
	v_cndmask_b32_e64 v7, 0, 1, vcc_lo
	v_cmp_lt_i32_e32 vcc_lo, 5, v12
	v_lshl_or_b32 v2, v2, 9, 0x7c00
	s_delay_alu instid0(VALU_DEP_3)
	v_lshl_or_b32 v7, v7, 9, 0x7c00
	s_or_b32 vcc_lo, s0, vcc_lo
	s_wait_alu 0xfffe
	v_add_co_ci_u32_e32 v10, vcc_lo, 0, v10, vcc_lo
	s_or_b32 vcc_lo, s2, s1
	s_wait_alu 0xfffe
	v_add_co_ci_u32_e32 v5, vcc_lo, 0, v5, vcc_lo
	v_cmp_gt_i32_e32 vcc_lo, 31, v9
	s_wait_alu 0xfffd
	v_cndmask_b32_e32 v10, 0x7c00, v10, vcc_lo
	v_cmp_gt_i32_e32 vcc_lo, 31, v11
	s_wait_alu 0xfffd
	v_cndmask_b32_e32 v5, 0x7c00, v5, vcc_lo
	v_cmp_eq_u32_e32 vcc_lo, 0x40f, v9
	s_wait_alu 0xfffd
	v_cndmask_b32_e32 v2, v10, v2, vcc_lo
	v_cmp_eq_u32_e32 vcc_lo, 0x40f, v11
	s_delay_alu instid0(VALU_DEP_2)
	v_and_or_b32 v2, 0x8000, v6, v2
	s_wait_alu 0xfffd
	v_cndmask_b32_e32 v5, v5, v7, vcc_lo
	v_add_co_u32 v0, vcc_lo, v0, s4
	s_wait_alu 0xfffd
	v_add_co_ci_u32_e32 v1, vcc_lo, s5, v1, vcc_lo
	v_and_b32_e32 v2, 0xffff, v2
	v_and_or_b32 v5, 0x8000, v8, v5
	s_delay_alu instid0(VALU_DEP_1)
	v_lshl_or_b32 v2, v5, 16, v2
	v_lshrrev_b32_e32 v5, 16, v3
	global_store_b32 v[0:1], v2, off
	global_load_b32 v2, v43, s[8:9] offset:2640
	s_wait_loadcnt 0x0
	v_lshrrev_b32_e32 v6, 16, v2
	s_delay_alu instid0(VALU_DEP_1) | instskip(SKIP_1) | instid1(VALU_DEP_2)
	v_mul_f16_e32 v7, v5, v6
	v_mul_f16_e32 v6, v3, v6
	v_fmac_f16_e32 v7, v3, v2
	s_delay_alu instid0(VALU_DEP_2) | instskip(NEXT) | instid1(VALU_DEP_2)
	v_fma_f16 v2, v2, v5, -v6
	v_cvt_f32_f16_e32 v3, v7
	s_delay_alu instid0(VALU_DEP_2) | instskip(NEXT) | instid1(VALU_DEP_2)
	v_cvt_f32_f16_e32 v5, v2
	v_cvt_f64_f32_e32 v[2:3], v3
	s_delay_alu instid0(VALU_DEP_2) | instskip(NEXT) | instid1(VALU_DEP_2)
	v_cvt_f64_f32_e32 v[5:6], v5
	v_mul_f64_e32 v[2:3], s[10:11], v[2:3]
	s_delay_alu instid0(VALU_DEP_2) | instskip(NEXT) | instid1(VALU_DEP_2)
	v_mul_f64_e32 v[5:6], s[10:11], v[5:6]
	v_and_or_b32 v2, 0x1ff, v3, v2
	s_delay_alu instid0(VALU_DEP_2)
	v_and_or_b32 v5, 0x1ff, v6, v5
	v_lshrrev_b32_e32 v7, 8, v3
	v_bfe_u32 v8, v3, 20, 11
	v_lshrrev_b32_e32 v9, 8, v6
	v_cmp_ne_u32_e32 vcc_lo, 0, v2
	v_bfe_u32 v10, v6, 20, 11
	v_lshrrev_b32_e32 v3, 16, v3
	v_sub_nc_u32_e32 v11, 0x3f1, v8
	v_lshrrev_b32_e32 v6, 16, v6
	s_wait_alu 0xfffd
	v_cndmask_b32_e64 v2, 0, 1, vcc_lo
	v_cmp_ne_u32_e32 vcc_lo, 0, v5
	s_delay_alu instid0(VALU_DEP_2) | instskip(SKIP_3) | instid1(VALU_DEP_2)
	v_and_or_b32 v2, 0xffe, v7, v2
	s_wait_alu 0xfffd
	v_cndmask_b32_e64 v5, 0, 1, vcc_lo
	v_sub_nc_u32_e32 v7, 0x3f1, v10
	v_and_or_b32 v5, 0xffe, v9, v5
	v_med3_i32 v9, v11, 0, 13
	v_or_b32_e32 v11, 0x1000, v2
	s_delay_alu instid0(VALU_DEP_4) | instskip(NEXT) | instid1(VALU_DEP_4)
	v_med3_i32 v7, v7, 0, 13
	v_or_b32_e32 v12, 0x1000, v5
	s_delay_alu instid0(VALU_DEP_3) | instskip(NEXT) | instid1(VALU_DEP_2)
	v_lshrrev_b32_e32 v13, v9, v11
	v_lshrrev_b32_e32 v14, v7, v12
	s_delay_alu instid0(VALU_DEP_2) | instskip(NEXT) | instid1(VALU_DEP_2)
	v_lshlrev_b32_e32 v9, v9, v13
	v_lshlrev_b32_e32 v7, v7, v14
	s_delay_alu instid0(VALU_DEP_2) | instskip(SKIP_2) | instid1(VALU_DEP_3)
	v_cmp_ne_u32_e32 vcc_lo, v9, v11
	s_wait_alu 0xfffd
	v_cndmask_b32_e64 v9, 0, 1, vcc_lo
	v_cmp_ne_u32_e32 vcc_lo, v7, v12
	s_delay_alu instid0(VALU_DEP_2) | instskip(SKIP_3) | instid1(VALU_DEP_2)
	v_or_b32_e32 v9, v13, v9
	v_add_nc_u32_e32 v8, 0xfffffc10, v8
	s_wait_alu 0xfffd
	v_cndmask_b32_e64 v7, 0, 1, vcc_lo
	v_lshl_or_b32 v11, v8, 12, v2
	s_delay_alu instid0(VALU_DEP_2) | instskip(SKIP_2) | instid1(VALU_DEP_2)
	v_or_b32_e32 v7, v14, v7
	v_add_nc_u32_e32 v10, 0xfffffc10, v10
	v_cmp_gt_i32_e32 vcc_lo, 1, v8
	v_lshl_or_b32 v12, v10, 12, v5
	s_wait_alu 0xfffd
	v_cndmask_b32_e32 v9, v11, v9, vcc_lo
	v_cmp_gt_i32_e32 vcc_lo, 1, v10
	s_delay_alu instid0(VALU_DEP_2)
	v_and_b32_e32 v11, 7, v9
	s_wait_alu 0xfffd
	v_cndmask_b32_e32 v7, v12, v7, vcc_lo
	v_cmp_ne_u32_e32 vcc_lo, 0, v2
	v_lshrrev_b32_e32 v9, 2, v9
	v_cmp_eq_u32_e64 s0, 3, v11
	s_delay_alu instid0(VALU_DEP_4)
	v_and_b32_e32 v12, 7, v7
	s_wait_alu 0xfffd
	v_cndmask_b32_e64 v2, 0, 1, vcc_lo
	v_cmp_ne_u32_e32 vcc_lo, 0, v5
	v_lshrrev_b32_e32 v7, 2, v7
	v_cmp_lt_i32_e64 s1, 5, v12
	v_cmp_eq_u32_e64 s2, 3, v12
	s_wait_alu 0xfffd
	v_cndmask_b32_e64 v5, 0, 1, vcc_lo
	v_cmp_lt_i32_e32 vcc_lo, 5, v11
	v_lshl_or_b32 v2, v2, 9, 0x7c00
	s_delay_alu instid0(VALU_DEP_3)
	v_lshl_or_b32 v5, v5, 9, 0x7c00
	s_or_b32 vcc_lo, s0, vcc_lo
	s_wait_alu 0xfffe
	v_add_co_ci_u32_e32 v9, vcc_lo, 0, v9, vcc_lo
	s_or_b32 vcc_lo, s2, s1
	s_wait_alu 0xfffe
	v_add_co_ci_u32_e32 v7, vcc_lo, 0, v7, vcc_lo
	v_cmp_gt_i32_e32 vcc_lo, 31, v8
	s_wait_alu 0xfffd
	v_cndmask_b32_e32 v9, 0x7c00, v9, vcc_lo
	v_cmp_gt_i32_e32 vcc_lo, 31, v10
	s_wait_alu 0xfffd
	v_cndmask_b32_e32 v7, 0x7c00, v7, vcc_lo
	v_cmp_eq_u32_e32 vcc_lo, 0x40f, v8
	s_wait_alu 0xfffd
	v_cndmask_b32_e32 v2, v9, v2, vcc_lo
	v_cmp_eq_u32_e32 vcc_lo, 0x40f, v10
	s_delay_alu instid0(VALU_DEP_2)
	v_and_or_b32 v2, 0x8000, v3, v2
	s_wait_alu 0xfffd
	v_cndmask_b32_e32 v5, v7, v5, vcc_lo
	v_add_co_u32 v0, vcc_lo, v0, s4
	s_wait_alu 0xfffd
	v_add_co_ci_u32_e32 v1, vcc_lo, s5, v1, vcc_lo
	v_and_b32_e32 v2, 0xffff, v2
	v_and_or_b32 v3, 0x8000, v6, v5
	s_delay_alu instid0(VALU_DEP_1)
	v_lshl_or_b32 v2, v3, 16, v2
	global_store_b32 v[0:1], v2, off
	global_load_b32 v5, v43, s[8:9] offset:2860
	v_add_nc_u32_e32 v2, 0xa00, v4
	ds_load_2addr_b32 v[2:3], v2 offset0:75 offset1:130
	s_wait_dscnt 0x0
	v_lshrrev_b32_e32 v6, 16, v2
	s_wait_loadcnt 0x0
	v_lshrrev_b32_e32 v7, 16, v5
	s_delay_alu instid0(VALU_DEP_1) | instskip(SKIP_1) | instid1(VALU_DEP_2)
	v_mul_f16_e32 v8, v6, v7
	v_mul_f16_e32 v7, v2, v7
	v_fmac_f16_e32 v8, v2, v5
	s_delay_alu instid0(VALU_DEP_2) | instskip(NEXT) | instid1(VALU_DEP_2)
	v_fma_f16 v2, v5, v6, -v7
	v_cvt_f32_f16_e32 v5, v8
	s_delay_alu instid0(VALU_DEP_2) | instskip(NEXT) | instid1(VALU_DEP_2)
	v_cvt_f32_f16_e32 v2, v2
	v_cvt_f64_f32_e32 v[5:6], v5
	s_delay_alu instid0(VALU_DEP_2) | instskip(NEXT) | instid1(VALU_DEP_2)
	v_cvt_f64_f32_e32 v[7:8], v2
	v_mul_f64_e32 v[5:6], s[10:11], v[5:6]
	s_delay_alu instid0(VALU_DEP_2) | instskip(NEXT) | instid1(VALU_DEP_2)
	v_mul_f64_e32 v[7:8], s[10:11], v[7:8]
	v_and_or_b32 v2, 0x1ff, v6, v5
	s_delay_alu instid0(VALU_DEP_2)
	v_and_or_b32 v7, 0x1ff, v8, v7
	v_lshrrev_b32_e32 v5, 8, v6
	v_bfe_u32 v9, v6, 20, 11
	v_lshrrev_b32_e32 v10, 8, v8
	v_cmp_ne_u32_e32 vcc_lo, 0, v2
	v_bfe_u32 v11, v8, 20, 11
	v_lshrrev_b32_e32 v6, 16, v6
	v_sub_nc_u32_e32 v12, 0x3f1, v9
	v_add_nc_u32_e32 v9, 0xfffffc10, v9
	s_wait_alu 0xfffd
	v_cndmask_b32_e64 v2, 0, 1, vcc_lo
	v_cmp_ne_u32_e32 vcc_lo, 0, v7
	v_lshrrev_b32_e32 v8, 16, v8
	s_delay_alu instid0(VALU_DEP_3) | instskip(SKIP_4) | instid1(VALU_DEP_3)
	v_and_or_b32 v2, 0xffe, v5, v2
	s_wait_alu 0xfffd
	v_cndmask_b32_e64 v7, 0, 1, vcc_lo
	v_sub_nc_u32_e32 v5, 0x3f1, v11
	v_add_nc_u32_e32 v11, 0xfffffc10, v11
	v_and_or_b32 v7, 0xffe, v10, v7
	v_med3_i32 v10, v12, 0, 13
	v_or_b32_e32 v12, 0x1000, v2
	v_med3_i32 v5, v5, 0, 13
	s_delay_alu instid0(VALU_DEP_4) | instskip(NEXT) | instid1(VALU_DEP_3)
	v_or_b32_e32 v13, 0x1000, v7
	v_lshrrev_b32_e32 v14, v10, v12
	s_delay_alu instid0(VALU_DEP_2) | instskip(NEXT) | instid1(VALU_DEP_2)
	v_lshrrev_b32_e32 v15, v5, v13
	v_lshlrev_b32_e32 v10, v10, v14
	s_delay_alu instid0(VALU_DEP_2) | instskip(NEXT) | instid1(VALU_DEP_2)
	v_lshlrev_b32_e32 v5, v5, v15
	v_cmp_ne_u32_e32 vcc_lo, v10, v12
	v_lshl_or_b32 v12, v9, 12, v2
	s_wait_alu 0xfffd
	v_cndmask_b32_e64 v10, 0, 1, vcc_lo
	v_cmp_ne_u32_e32 vcc_lo, v5, v13
	v_lshl_or_b32 v13, v11, 12, v7
	s_delay_alu instid0(VALU_DEP_3) | instskip(SKIP_3) | instid1(VALU_DEP_2)
	v_or_b32_e32 v10, v14, v10
	s_wait_alu 0xfffd
	v_cndmask_b32_e64 v5, 0, 1, vcc_lo
	v_cmp_gt_i32_e32 vcc_lo, 1, v9
	v_or_b32_e32 v5, v15, v5
	s_wait_alu 0xfffd
	v_cndmask_b32_e32 v10, v12, v10, vcc_lo
	v_cmp_gt_i32_e32 vcc_lo, 1, v11
	s_wait_alu 0xfffd
	s_delay_alu instid0(VALU_DEP_2) | instskip(SKIP_2) | instid1(VALU_DEP_3)
	v_dual_cndmask_b32 v5, v13, v5 :: v_dual_and_b32 v12, 7, v10
	v_cmp_ne_u32_e32 vcc_lo, 0, v2
	v_lshrrev_b32_e32 v10, 2, v10
	v_cmp_eq_u32_e64 s0, 3, v12
	s_delay_alu instid0(VALU_DEP_4)
	v_and_b32_e32 v13, 7, v5
	s_wait_alu 0xfffd
	v_cndmask_b32_e64 v2, 0, 1, vcc_lo
	v_cmp_ne_u32_e32 vcc_lo, 0, v7
	v_lshrrev_b32_e32 v5, 2, v5
	v_cmp_lt_i32_e64 s1, 5, v13
	v_cmp_eq_u32_e64 s2, 3, v13
	s_wait_alu 0xfffd
	v_cndmask_b32_e64 v7, 0, 1, vcc_lo
	v_cmp_lt_i32_e32 vcc_lo, 5, v12
	v_lshl_or_b32 v2, v2, 9, 0x7c00
	s_delay_alu instid0(VALU_DEP_3)
	v_lshl_or_b32 v7, v7, 9, 0x7c00
	s_or_b32 vcc_lo, s0, vcc_lo
	s_wait_alu 0xfffe
	v_add_co_ci_u32_e32 v10, vcc_lo, 0, v10, vcc_lo
	s_or_b32 vcc_lo, s2, s1
	s_wait_alu 0xfffe
	v_add_co_ci_u32_e32 v5, vcc_lo, 0, v5, vcc_lo
	v_cmp_gt_i32_e32 vcc_lo, 31, v9
	s_wait_alu 0xfffd
	v_cndmask_b32_e32 v10, 0x7c00, v10, vcc_lo
	v_cmp_gt_i32_e32 vcc_lo, 31, v11
	s_wait_alu 0xfffd
	v_cndmask_b32_e32 v5, 0x7c00, v5, vcc_lo
	v_cmp_eq_u32_e32 vcc_lo, 0x40f, v9
	s_wait_alu 0xfffd
	v_cndmask_b32_e32 v2, v10, v2, vcc_lo
	v_cmp_eq_u32_e32 vcc_lo, 0x40f, v11
	s_delay_alu instid0(VALU_DEP_2)
	v_and_or_b32 v2, 0x8000, v6, v2
	s_wait_alu 0xfffd
	v_cndmask_b32_e32 v5, v5, v7, vcc_lo
	v_add_co_u32 v0, vcc_lo, v0, s4
	s_wait_alu 0xfffd
	v_add_co_ci_u32_e32 v1, vcc_lo, s5, v1, vcc_lo
	v_and_b32_e32 v2, 0xffff, v2
	v_and_or_b32 v5, 0x8000, v8, v5
	s_delay_alu instid0(VALU_DEP_1)
	v_lshl_or_b32 v2, v5, 16, v2
	v_lshrrev_b32_e32 v5, 16, v3
	global_store_b32 v[0:1], v2, off
	global_load_b32 v2, v43, s[8:9] offset:3080
	s_wait_loadcnt 0x0
	v_lshrrev_b32_e32 v6, 16, v2
	s_delay_alu instid0(VALU_DEP_1) | instskip(SKIP_1) | instid1(VALU_DEP_2)
	v_mul_f16_e32 v7, v5, v6
	v_mul_f16_e32 v6, v3, v6
	v_fmac_f16_e32 v7, v3, v2
	s_delay_alu instid0(VALU_DEP_2) | instskip(NEXT) | instid1(VALU_DEP_2)
	v_fma_f16 v2, v2, v5, -v6
	v_cvt_f32_f16_e32 v3, v7
	s_delay_alu instid0(VALU_DEP_2) | instskip(NEXT) | instid1(VALU_DEP_2)
	v_cvt_f32_f16_e32 v5, v2
	v_cvt_f64_f32_e32 v[2:3], v3
	s_delay_alu instid0(VALU_DEP_2) | instskip(NEXT) | instid1(VALU_DEP_2)
	v_cvt_f64_f32_e32 v[5:6], v5
	v_mul_f64_e32 v[2:3], s[10:11], v[2:3]
	s_delay_alu instid0(VALU_DEP_2) | instskip(NEXT) | instid1(VALU_DEP_2)
	v_mul_f64_e32 v[5:6], s[10:11], v[5:6]
	v_and_or_b32 v2, 0x1ff, v3, v2
	s_delay_alu instid0(VALU_DEP_2)
	v_and_or_b32 v5, 0x1ff, v6, v5
	v_lshrrev_b32_e32 v7, 8, v3
	v_bfe_u32 v8, v3, 20, 11
	v_lshrrev_b32_e32 v9, 8, v6
	v_cmp_ne_u32_e32 vcc_lo, 0, v2
	v_bfe_u32 v10, v6, 20, 11
	v_lshrrev_b32_e32 v3, 16, v3
	v_sub_nc_u32_e32 v11, 0x3f1, v8
	v_lshrrev_b32_e32 v6, 16, v6
	s_wait_alu 0xfffd
	v_cndmask_b32_e64 v2, 0, 1, vcc_lo
	v_cmp_ne_u32_e32 vcc_lo, 0, v5
	s_delay_alu instid0(VALU_DEP_2) | instskip(SKIP_3) | instid1(VALU_DEP_2)
	v_and_or_b32 v2, 0xffe, v7, v2
	s_wait_alu 0xfffd
	v_cndmask_b32_e64 v5, 0, 1, vcc_lo
	v_sub_nc_u32_e32 v7, 0x3f1, v10
	v_and_or_b32 v5, 0xffe, v9, v5
	v_med3_i32 v9, v11, 0, 13
	v_or_b32_e32 v11, 0x1000, v2
	s_delay_alu instid0(VALU_DEP_4) | instskip(NEXT) | instid1(VALU_DEP_4)
	v_med3_i32 v7, v7, 0, 13
	v_or_b32_e32 v12, 0x1000, v5
	s_delay_alu instid0(VALU_DEP_3) | instskip(NEXT) | instid1(VALU_DEP_2)
	v_lshrrev_b32_e32 v13, v9, v11
	v_lshrrev_b32_e32 v14, v7, v12
	s_delay_alu instid0(VALU_DEP_2) | instskip(NEXT) | instid1(VALU_DEP_2)
	v_lshlrev_b32_e32 v9, v9, v13
	v_lshlrev_b32_e32 v7, v7, v14
	s_delay_alu instid0(VALU_DEP_2) | instskip(SKIP_2) | instid1(VALU_DEP_3)
	v_cmp_ne_u32_e32 vcc_lo, v9, v11
	s_wait_alu 0xfffd
	v_cndmask_b32_e64 v9, 0, 1, vcc_lo
	v_cmp_ne_u32_e32 vcc_lo, v7, v12
	s_delay_alu instid0(VALU_DEP_2) | instskip(SKIP_3) | instid1(VALU_DEP_2)
	v_or_b32_e32 v9, v13, v9
	v_add_nc_u32_e32 v8, 0xfffffc10, v8
	s_wait_alu 0xfffd
	v_cndmask_b32_e64 v7, 0, 1, vcc_lo
	v_lshl_or_b32 v11, v8, 12, v2
	s_delay_alu instid0(VALU_DEP_2) | instskip(SKIP_2) | instid1(VALU_DEP_2)
	v_or_b32_e32 v7, v14, v7
	v_add_nc_u32_e32 v10, 0xfffffc10, v10
	v_cmp_gt_i32_e32 vcc_lo, 1, v8
	v_lshl_or_b32 v12, v10, 12, v5
	s_wait_alu 0xfffd
	v_cndmask_b32_e32 v9, v11, v9, vcc_lo
	v_cmp_gt_i32_e32 vcc_lo, 1, v10
	s_delay_alu instid0(VALU_DEP_2)
	v_and_b32_e32 v11, 7, v9
	s_wait_alu 0xfffd
	v_cndmask_b32_e32 v7, v12, v7, vcc_lo
	v_cmp_ne_u32_e32 vcc_lo, 0, v2
	v_lshrrev_b32_e32 v9, 2, v9
	v_cmp_eq_u32_e64 s0, 3, v11
	s_delay_alu instid0(VALU_DEP_4)
	v_and_b32_e32 v12, 7, v7
	s_wait_alu 0xfffd
	v_cndmask_b32_e64 v2, 0, 1, vcc_lo
	v_cmp_ne_u32_e32 vcc_lo, 0, v5
	v_lshrrev_b32_e32 v7, 2, v7
	v_cmp_lt_i32_e64 s1, 5, v12
	v_cmp_eq_u32_e64 s2, 3, v12
	s_wait_alu 0xfffd
	v_cndmask_b32_e64 v5, 0, 1, vcc_lo
	v_cmp_lt_i32_e32 vcc_lo, 5, v11
	v_lshl_or_b32 v2, v2, 9, 0x7c00
	s_delay_alu instid0(VALU_DEP_3)
	v_lshl_or_b32 v5, v5, 9, 0x7c00
	s_or_b32 vcc_lo, s0, vcc_lo
	s_wait_alu 0xfffe
	v_add_co_ci_u32_e32 v9, vcc_lo, 0, v9, vcc_lo
	s_or_b32 vcc_lo, s2, s1
	s_wait_alu 0xfffe
	v_add_co_ci_u32_e32 v7, vcc_lo, 0, v7, vcc_lo
	v_cmp_gt_i32_e32 vcc_lo, 31, v8
	s_wait_alu 0xfffd
	v_cndmask_b32_e32 v9, 0x7c00, v9, vcc_lo
	v_cmp_gt_i32_e32 vcc_lo, 31, v10
	s_wait_alu 0xfffd
	v_cndmask_b32_e32 v7, 0x7c00, v7, vcc_lo
	v_cmp_eq_u32_e32 vcc_lo, 0x40f, v8
	s_wait_alu 0xfffd
	v_cndmask_b32_e32 v2, v9, v2, vcc_lo
	v_cmp_eq_u32_e32 vcc_lo, 0x40f, v10
	s_delay_alu instid0(VALU_DEP_2)
	v_and_or_b32 v2, 0x8000, v3, v2
	s_wait_alu 0xfffd
	v_cndmask_b32_e32 v5, v7, v5, vcc_lo
	v_add_co_u32 v0, vcc_lo, v0, s4
	s_wait_alu 0xfffd
	v_add_co_ci_u32_e32 v1, vcc_lo, s5, v1, vcc_lo
	v_and_b32_e32 v2, 0xffff, v2
	v_and_or_b32 v3, 0x8000, v6, v5
	s_delay_alu instid0(VALU_DEP_1)
	v_lshl_or_b32 v2, v3, 16, v2
	global_store_b32 v[0:1], v2, off
	global_load_b32 v5, v43, s[8:9] offset:3300
	v_add_nc_u32_e32 v2, 0xc00, v4
	ds_load_2addr_b32 v[2:3], v2 offset0:57 offset1:112
	s_wait_dscnt 0x0
	v_lshrrev_b32_e32 v4, 16, v2
	s_wait_loadcnt 0x0
	v_lshrrev_b32_e32 v6, 16, v5
	s_delay_alu instid0(VALU_DEP_1) | instskip(SKIP_1) | instid1(VALU_DEP_2)
	v_mul_f16_e32 v7, v4, v6
	v_mul_f16_e32 v6, v2, v6
	v_fmac_f16_e32 v7, v2, v5
	s_delay_alu instid0(VALU_DEP_2) | instskip(NEXT) | instid1(VALU_DEP_2)
	v_fma_f16 v2, v5, v4, -v6
	v_cvt_f32_f16_e32 v4, v7
	s_delay_alu instid0(VALU_DEP_2) | instskip(NEXT) | instid1(VALU_DEP_2)
	v_cvt_f32_f16_e32 v2, v2
	v_cvt_f64_f32_e32 v[4:5], v4
	s_delay_alu instid0(VALU_DEP_2) | instskip(NEXT) | instid1(VALU_DEP_2)
	v_cvt_f64_f32_e32 v[6:7], v2
	v_mul_f64_e32 v[4:5], s[10:11], v[4:5]
	s_delay_alu instid0(VALU_DEP_2) | instskip(NEXT) | instid1(VALU_DEP_2)
	v_mul_f64_e32 v[6:7], s[10:11], v[6:7]
	v_and_or_b32 v2, 0x1ff, v5, v4
	s_delay_alu instid0(VALU_DEP_2)
	v_and_or_b32 v6, 0x1ff, v7, v6
	v_lshrrev_b32_e32 v4, 8, v5
	v_bfe_u32 v8, v5, 20, 11
	v_lshrrev_b32_e32 v9, 8, v7
	v_cmp_ne_u32_e32 vcc_lo, 0, v2
	v_bfe_u32 v10, v7, 20, 11
	v_lshrrev_b32_e32 v5, 16, v5
	v_sub_nc_u32_e32 v11, 0x3f1, v8
	v_add_nc_u32_e32 v8, 0xfffffc10, v8
	s_wait_alu 0xfffd
	v_cndmask_b32_e64 v2, 0, 1, vcc_lo
	v_cmp_ne_u32_e32 vcc_lo, 0, v6
	v_lshrrev_b32_e32 v7, 16, v7
	s_delay_alu instid0(VALU_DEP_3) | instskip(SKIP_4) | instid1(VALU_DEP_3)
	v_and_or_b32 v2, 0xffe, v4, v2
	s_wait_alu 0xfffd
	v_cndmask_b32_e64 v6, 0, 1, vcc_lo
	v_sub_nc_u32_e32 v4, 0x3f1, v10
	v_add_nc_u32_e32 v10, 0xfffffc10, v10
	v_and_or_b32 v6, 0xffe, v9, v6
	v_med3_i32 v9, v11, 0, 13
	v_or_b32_e32 v11, 0x1000, v2
	v_med3_i32 v4, v4, 0, 13
	s_delay_alu instid0(VALU_DEP_4) | instskip(NEXT) | instid1(VALU_DEP_3)
	v_or_b32_e32 v12, 0x1000, v6
	v_lshrrev_b32_e32 v13, v9, v11
	s_delay_alu instid0(VALU_DEP_2) | instskip(NEXT) | instid1(VALU_DEP_2)
	v_lshrrev_b32_e32 v14, v4, v12
	v_lshlrev_b32_e32 v9, v9, v13
	s_delay_alu instid0(VALU_DEP_2) | instskip(NEXT) | instid1(VALU_DEP_2)
	v_lshlrev_b32_e32 v4, v4, v14
	v_cmp_ne_u32_e32 vcc_lo, v9, v11
	v_lshl_or_b32 v11, v8, 12, v2
	s_wait_alu 0xfffd
	v_cndmask_b32_e64 v9, 0, 1, vcc_lo
	v_cmp_ne_u32_e32 vcc_lo, v4, v12
	v_lshl_or_b32 v12, v10, 12, v6
	s_delay_alu instid0(VALU_DEP_3) | instskip(SKIP_3) | instid1(VALU_DEP_2)
	v_or_b32_e32 v9, v13, v9
	s_wait_alu 0xfffd
	v_cndmask_b32_e64 v4, 0, 1, vcc_lo
	v_cmp_gt_i32_e32 vcc_lo, 1, v8
	v_or_b32_e32 v4, v14, v4
	s_wait_alu 0xfffd
	v_cndmask_b32_e32 v9, v11, v9, vcc_lo
	v_cmp_gt_i32_e32 vcc_lo, 1, v10
	s_wait_alu 0xfffd
	s_delay_alu instid0(VALU_DEP_2) | instskip(SKIP_2) | instid1(VALU_DEP_3)
	v_dual_cndmask_b32 v4, v12, v4 :: v_dual_and_b32 v11, 7, v9
	v_cmp_ne_u32_e32 vcc_lo, 0, v2
	v_lshrrev_b32_e32 v9, 2, v9
	v_cmp_eq_u32_e64 s0, 3, v11
	s_delay_alu instid0(VALU_DEP_4)
	v_and_b32_e32 v12, 7, v4
	s_wait_alu 0xfffd
	v_cndmask_b32_e64 v2, 0, 1, vcc_lo
	v_cmp_ne_u32_e32 vcc_lo, 0, v6
	v_lshrrev_b32_e32 v4, 2, v4
	v_cmp_lt_i32_e64 s1, 5, v12
	v_cmp_eq_u32_e64 s2, 3, v12
	s_wait_alu 0xfffd
	v_cndmask_b32_e64 v6, 0, 1, vcc_lo
	v_cmp_lt_i32_e32 vcc_lo, 5, v11
	v_lshl_or_b32 v2, v2, 9, 0x7c00
	s_delay_alu instid0(VALU_DEP_3)
	v_lshl_or_b32 v6, v6, 9, 0x7c00
	s_or_b32 vcc_lo, s0, vcc_lo
	s_wait_alu 0xfffe
	v_add_co_ci_u32_e32 v9, vcc_lo, 0, v9, vcc_lo
	s_or_b32 vcc_lo, s2, s1
	s_wait_alu 0xfffe
	v_add_co_ci_u32_e32 v4, vcc_lo, 0, v4, vcc_lo
	v_cmp_gt_i32_e32 vcc_lo, 31, v8
	s_wait_alu 0xfffd
	v_cndmask_b32_e32 v9, 0x7c00, v9, vcc_lo
	v_cmp_gt_i32_e32 vcc_lo, 31, v10
	s_wait_alu 0xfffd
	v_cndmask_b32_e32 v4, 0x7c00, v4, vcc_lo
	v_cmp_eq_u32_e32 vcc_lo, 0x40f, v8
	s_wait_alu 0xfffd
	v_cndmask_b32_e32 v2, v9, v2, vcc_lo
	v_cmp_eq_u32_e32 vcc_lo, 0x40f, v10
	s_delay_alu instid0(VALU_DEP_2)
	v_and_or_b32 v2, 0x8000, v5, v2
	s_wait_alu 0xfffd
	v_cndmask_b32_e32 v4, v4, v6, vcc_lo
	v_add_co_u32 v0, vcc_lo, v0, s4
	s_wait_alu 0xfffd
	v_add_co_ci_u32_e32 v1, vcc_lo, s5, v1, vcc_lo
	s_delay_alu instid0(VALU_DEP_3) | instskip(SKIP_1) | instid1(VALU_DEP_1)
	v_and_or_b32 v4, 0x8000, v7, v4
	v_and_b32_e32 v2, 0xffff, v2
	v_lshl_or_b32 v2, v4, 16, v2
	v_lshrrev_b32_e32 v4, 16, v3
	global_store_b32 v[0:1], v2, off
	global_load_b32 v2, v43, s[8:9] offset:3520
	s_wait_loadcnt 0x0
	v_lshrrev_b32_e32 v5, 16, v2
	s_delay_alu instid0(VALU_DEP_1) | instskip(SKIP_1) | instid1(VALU_DEP_2)
	v_mul_f16_e32 v6, v4, v5
	v_mul_f16_e32 v5, v3, v5
	v_fmac_f16_e32 v6, v3, v2
	s_delay_alu instid0(VALU_DEP_2) | instskip(NEXT) | instid1(VALU_DEP_2)
	v_fma_f16 v2, v2, v4, -v5
	v_cvt_f32_f16_e32 v3, v6
	s_delay_alu instid0(VALU_DEP_2) | instskip(NEXT) | instid1(VALU_DEP_2)
	v_cvt_f32_f16_e32 v4, v2
	v_cvt_f64_f32_e32 v[2:3], v3
	s_delay_alu instid0(VALU_DEP_2) | instskip(NEXT) | instid1(VALU_DEP_2)
	v_cvt_f64_f32_e32 v[4:5], v4
	v_mul_f64_e32 v[2:3], s[10:11], v[2:3]
	s_delay_alu instid0(VALU_DEP_2) | instskip(NEXT) | instid1(VALU_DEP_2)
	v_mul_f64_e32 v[4:5], s[10:11], v[4:5]
	v_and_or_b32 v2, 0x1ff, v3, v2
	s_delay_alu instid0(VALU_DEP_2)
	v_and_or_b32 v4, 0x1ff, v5, v4
	v_lshrrev_b32_e32 v6, 8, v3
	v_bfe_u32 v7, v3, 20, 11
	v_lshrrev_b32_e32 v8, 8, v5
	v_cmp_ne_u32_e32 vcc_lo, 0, v2
	v_bfe_u32 v9, v5, 20, 11
	v_lshrrev_b32_e32 v3, 16, v3
	v_sub_nc_u32_e32 v10, 0x3f1, v7
	v_add_nc_u32_e32 v7, 0xfffffc10, v7
	s_wait_alu 0xfffd
	v_cndmask_b32_e64 v2, 0, 1, vcc_lo
	v_cmp_ne_u32_e32 vcc_lo, 0, v4
	v_lshrrev_b32_e32 v5, 16, v5
	s_delay_alu instid0(VALU_DEP_3) | instskip(SKIP_4) | instid1(VALU_DEP_3)
	v_and_or_b32 v2, 0xffe, v6, v2
	s_wait_alu 0xfffd
	v_cndmask_b32_e64 v4, 0, 1, vcc_lo
	v_sub_nc_u32_e32 v6, 0x3f1, v9
	v_add_nc_u32_e32 v9, 0xfffffc10, v9
	v_and_or_b32 v4, 0xffe, v8, v4
	v_med3_i32 v8, v10, 0, 13
	v_or_b32_e32 v10, 0x1000, v2
	v_med3_i32 v6, v6, 0, 13
	s_delay_alu instid0(VALU_DEP_4) | instskip(NEXT) | instid1(VALU_DEP_3)
	v_or_b32_e32 v11, 0x1000, v4
	v_lshrrev_b32_e32 v12, v8, v10
	s_delay_alu instid0(VALU_DEP_2) | instskip(NEXT) | instid1(VALU_DEP_2)
	v_lshrrev_b32_e32 v13, v6, v11
	v_lshlrev_b32_e32 v8, v8, v12
	s_delay_alu instid0(VALU_DEP_2) | instskip(NEXT) | instid1(VALU_DEP_2)
	v_lshlrev_b32_e32 v6, v6, v13
	v_cmp_ne_u32_e32 vcc_lo, v8, v10
	v_lshl_or_b32 v10, v7, 12, v2
	s_wait_alu 0xfffd
	v_cndmask_b32_e64 v8, 0, 1, vcc_lo
	v_cmp_ne_u32_e32 vcc_lo, v6, v11
	v_lshl_or_b32 v11, v9, 12, v4
	s_delay_alu instid0(VALU_DEP_3) | instskip(SKIP_3) | instid1(VALU_DEP_2)
	v_or_b32_e32 v8, v12, v8
	s_wait_alu 0xfffd
	v_cndmask_b32_e64 v6, 0, 1, vcc_lo
	v_cmp_gt_i32_e32 vcc_lo, 1, v7
	v_or_b32_e32 v6, v13, v6
	s_wait_alu 0xfffd
	v_cndmask_b32_e32 v8, v10, v8, vcc_lo
	v_cmp_gt_i32_e32 vcc_lo, 1, v9
	s_delay_alu instid0(VALU_DEP_2)
	v_and_b32_e32 v10, 7, v8
	s_wait_alu 0xfffd
	v_cndmask_b32_e32 v6, v11, v6, vcc_lo
	v_cmp_ne_u32_e32 vcc_lo, 0, v2
	v_lshrrev_b32_e32 v8, 2, v8
	v_cmp_eq_u32_e64 s0, 3, v10
	s_delay_alu instid0(VALU_DEP_4)
	v_and_b32_e32 v11, 7, v6
	s_wait_alu 0xfffd
	v_cndmask_b32_e64 v2, 0, 1, vcc_lo
	v_cmp_ne_u32_e32 vcc_lo, 0, v4
	v_lshrrev_b32_e32 v6, 2, v6
	v_cmp_lt_i32_e64 s1, 5, v11
	v_cmp_eq_u32_e64 s2, 3, v11
	s_wait_alu 0xfffd
	v_cndmask_b32_e64 v4, 0, 1, vcc_lo
	v_cmp_lt_i32_e32 vcc_lo, 5, v10
	v_lshl_or_b32 v2, v2, 9, 0x7c00
	s_delay_alu instid0(VALU_DEP_3)
	v_lshl_or_b32 v4, v4, 9, 0x7c00
	s_or_b32 vcc_lo, s0, vcc_lo
	s_wait_alu 0xfffe
	v_add_co_ci_u32_e32 v8, vcc_lo, 0, v8, vcc_lo
	s_or_b32 vcc_lo, s2, s1
	s_wait_alu 0xfffe
	v_add_co_ci_u32_e32 v6, vcc_lo, 0, v6, vcc_lo
	v_cmp_gt_i32_e32 vcc_lo, 31, v7
	s_wait_alu 0xfffd
	v_cndmask_b32_e32 v8, 0x7c00, v8, vcc_lo
	v_cmp_gt_i32_e32 vcc_lo, 31, v9
	s_wait_alu 0xfffd
	v_cndmask_b32_e32 v6, 0x7c00, v6, vcc_lo
	v_cmp_eq_u32_e32 vcc_lo, 0x40f, v7
	s_wait_alu 0xfffd
	v_cndmask_b32_e32 v2, v8, v2, vcc_lo
	v_cmp_eq_u32_e32 vcc_lo, 0x40f, v9
	s_delay_alu instid0(VALU_DEP_2)
	v_and_or_b32 v2, 0x8000, v3, v2
	s_wait_alu 0xfffd
	v_cndmask_b32_e32 v4, v6, v4, vcc_lo
	v_add_co_u32 v0, vcc_lo, v0, s4
	s_wait_alu 0xfffd
	v_add_co_ci_u32_e32 v1, vcc_lo, s5, v1, vcc_lo
	s_delay_alu instid0(VALU_DEP_3) | instskip(SKIP_1) | instid1(VALU_DEP_1)
	v_and_or_b32 v3, 0x8000, v5, v4
	v_and_b32_e32 v2, 0xffff, v2
	v_lshl_or_b32 v2, v3, 16, v2
	global_store_b32 v[0:1], v2, off
.LBB0_23:
	s_nop 0
	s_sendmsg sendmsg(MSG_DEALLOC_VGPRS)
	s_endpgm
	.section	.rodata,"a",@progbits
	.p2align	6, 0x0
	.amdhsa_kernel bluestein_single_back_len935_dim1_half_op_CI_CI
		.amdhsa_group_segment_fixed_size 11220
		.amdhsa_private_segment_fixed_size 0
		.amdhsa_kernarg_size 104
		.amdhsa_user_sgpr_count 2
		.amdhsa_user_sgpr_dispatch_ptr 0
		.amdhsa_user_sgpr_queue_ptr 0
		.amdhsa_user_sgpr_kernarg_segment_ptr 1
		.amdhsa_user_sgpr_dispatch_id 0
		.amdhsa_user_sgpr_private_segment_size 0
		.amdhsa_wavefront_size32 1
		.amdhsa_uses_dynamic_stack 0
		.amdhsa_enable_private_segment 0
		.amdhsa_system_sgpr_workgroup_id_x 1
		.amdhsa_system_sgpr_workgroup_id_y 0
		.amdhsa_system_sgpr_workgroup_id_z 0
		.amdhsa_system_sgpr_workgroup_info 0
		.amdhsa_system_vgpr_workitem_id 0
		.amdhsa_next_free_vgpr 198
		.amdhsa_next_free_sgpr 14
		.amdhsa_reserve_vcc 1
		.amdhsa_float_round_mode_32 0
		.amdhsa_float_round_mode_16_64 0
		.amdhsa_float_denorm_mode_32 3
		.amdhsa_float_denorm_mode_16_64 3
		.amdhsa_fp16_overflow 0
		.amdhsa_workgroup_processor_mode 1
		.amdhsa_memory_ordered 1
		.amdhsa_forward_progress 0
		.amdhsa_round_robin_scheduling 0
		.amdhsa_exception_fp_ieee_invalid_op 0
		.amdhsa_exception_fp_denorm_src 0
		.amdhsa_exception_fp_ieee_div_zero 0
		.amdhsa_exception_fp_ieee_overflow 0
		.amdhsa_exception_fp_ieee_underflow 0
		.amdhsa_exception_fp_ieee_inexact 0
		.amdhsa_exception_int_div_zero 0
	.end_amdhsa_kernel
	.text
.Lfunc_end0:
	.size	bluestein_single_back_len935_dim1_half_op_CI_CI, .Lfunc_end0-bluestein_single_back_len935_dim1_half_op_CI_CI
                                        ; -- End function
	.section	.AMDGPU.csdata,"",@progbits
; Kernel info:
; codeLenInByte = 36996
; NumSgprs: 16
; NumVgprs: 198
; ScratchSize: 0
; MemoryBound: 0
; FloatMode: 240
; IeeeMode: 1
; LDSByteSize: 11220 bytes/workgroup (compile time only)
; SGPRBlocks: 1
; VGPRBlocks: 24
; NumSGPRsForWavesPerEU: 16
; NumVGPRsForWavesPerEU: 198
; Occupancy: 7
; WaveLimiterHint : 1
; COMPUTE_PGM_RSRC2:SCRATCH_EN: 0
; COMPUTE_PGM_RSRC2:USER_SGPR: 2
; COMPUTE_PGM_RSRC2:TRAP_HANDLER: 0
; COMPUTE_PGM_RSRC2:TGID_X_EN: 1
; COMPUTE_PGM_RSRC2:TGID_Y_EN: 0
; COMPUTE_PGM_RSRC2:TGID_Z_EN: 0
; COMPUTE_PGM_RSRC2:TIDIG_COMP_CNT: 0
	.text
	.p2alignl 7, 3214868480
	.fill 96, 4, 3214868480
	.type	__hip_cuid_cc1b0ffc751803bf,@object ; @__hip_cuid_cc1b0ffc751803bf
	.section	.bss,"aw",@nobits
	.globl	__hip_cuid_cc1b0ffc751803bf
__hip_cuid_cc1b0ffc751803bf:
	.byte	0                               ; 0x0
	.size	__hip_cuid_cc1b0ffc751803bf, 1

	.ident	"AMD clang version 19.0.0git (https://github.com/RadeonOpenCompute/llvm-project roc-6.4.0 25133 c7fe45cf4b819c5991fe208aaa96edf142730f1d)"
	.section	".note.GNU-stack","",@progbits
	.addrsig
	.addrsig_sym __hip_cuid_cc1b0ffc751803bf
	.amdgpu_metadata
---
amdhsa.kernels:
  - .args:
      - .actual_access:  read_only
        .address_space:  global
        .offset:         0
        .size:           8
        .value_kind:     global_buffer
      - .actual_access:  read_only
        .address_space:  global
        .offset:         8
        .size:           8
        .value_kind:     global_buffer
      - .actual_access:  read_only
        .address_space:  global
        .offset:         16
        .size:           8
        .value_kind:     global_buffer
      - .actual_access:  read_only
        .address_space:  global
        .offset:         24
        .size:           8
        .value_kind:     global_buffer
      - .actual_access:  read_only
        .address_space:  global
        .offset:         32
        .size:           8
        .value_kind:     global_buffer
      - .offset:         40
        .size:           8
        .value_kind:     by_value
      - .address_space:  global
        .offset:         48
        .size:           8
        .value_kind:     global_buffer
      - .address_space:  global
        .offset:         56
        .size:           8
        .value_kind:     global_buffer
      - .address_space:  global
        .offset:         64
        .size:           8
        .value_kind:     global_buffer
      - .address_space:  global
        .offset:         72
        .size:           8
        .value_kind:     global_buffer
      - .offset:         80
        .size:           4
        .value_kind:     by_value
      - .address_space:  global
        .offset:         88
        .size:           8
        .value_kind:     global_buffer
      - .address_space:  global
        .offset:         96
        .size:           8
        .value_kind:     global_buffer
    .group_segment_fixed_size: 11220
    .kernarg_segment_align: 8
    .kernarg_segment_size: 104
    .language:       OpenCL C
    .language_version:
      - 2
      - 0
    .max_flat_workgroup_size: 255
    .name:           bluestein_single_back_len935_dim1_half_op_CI_CI
    .private_segment_fixed_size: 0
    .sgpr_count:     16
    .sgpr_spill_count: 0
    .symbol:         bluestein_single_back_len935_dim1_half_op_CI_CI.kd
    .uniform_work_group_size: 1
    .uses_dynamic_stack: false
    .vgpr_count:     198
    .vgpr_spill_count: 0
    .wavefront_size: 32
    .workgroup_processor_mode: 1
amdhsa.target:   amdgcn-amd-amdhsa--gfx1201
amdhsa.version:
  - 1
  - 2
...

	.end_amdgpu_metadata
